;; amdgpu-corpus repo=ROCm/rocFFT kind=compiled arch=gfx1201 opt=O3
	.text
	.amdgcn_target "amdgcn-amd-amdhsa--gfx1201"
	.amdhsa_code_object_version 6
	.protected	fft_rtc_back_len1326_factors_17_6_13_wgs_204_tpt_102_halfLds_dp_ip_CI_unitstride_sbrr_R2C_dirReg ; -- Begin function fft_rtc_back_len1326_factors_17_6_13_wgs_204_tpt_102_halfLds_dp_ip_CI_unitstride_sbrr_R2C_dirReg
	.globl	fft_rtc_back_len1326_factors_17_6_13_wgs_204_tpt_102_halfLds_dp_ip_CI_unitstride_sbrr_R2C_dirReg
	.p2align	8
	.type	fft_rtc_back_len1326_factors_17_6_13_wgs_204_tpt_102_halfLds_dp_ip_CI_unitstride_sbrr_R2C_dirReg,@function
fft_rtc_back_len1326_factors_17_6_13_wgs_204_tpt_102_halfLds_dp_ip_CI_unitstride_sbrr_R2C_dirReg: ; @fft_rtc_back_len1326_factors_17_6_13_wgs_204_tpt_102_halfLds_dp_ip_CI_unitstride_sbrr_R2C_dirReg
; %bb.0:
	s_clause 0x2
	s_load_b128 s[4:7], s[0:1], 0x0
	s_load_b64 s[8:9], s[0:1], 0x50
	s_load_b64 s[10:11], s[0:1], 0x18
	v_mul_u32_u24_e32 v1, 0x283, v0
	v_mov_b32_e32 v3, 0
	s_delay_alu instid0(VALU_DEP_2) | instskip(SKIP_2) | instid1(VALU_DEP_4)
	v_lshrrev_b32_e32 v9, 16, v1
	v_mov_b32_e32 v1, 0
	v_mov_b32_e32 v2, 0
	;; [unrolled: 1-line block ×3, first 2 shown]
	s_delay_alu instid0(VALU_DEP_4) | instskip(SKIP_2) | instid1(VALU_DEP_1)
	v_lshl_add_u32 v5, ttmp9, 1, v9
	s_wait_kmcnt 0x0
	v_cmp_lt_u64_e64 s2, s[6:7], 2
	s_and_b32 vcc_lo, exec_lo, s2
	s_cbranch_vccnz .LBB0_8
; %bb.1:
	s_load_b64 s[2:3], s[0:1], 0x10
	v_mov_b32_e32 v1, 0
	v_mov_b32_e32 v2, 0
	s_add_nc_u64 s[12:13], s[10:11], 8
	s_mov_b64 s[14:15], 1
	s_wait_kmcnt 0x0
	s_add_nc_u64 s[16:17], s[2:3], 8
	s_mov_b32 s3, 0
.LBB0_2:                                ; =>This Inner Loop Header: Depth=1
	s_load_b64 s[18:19], s[16:17], 0x0
                                        ; implicit-def: $vgpr7_vgpr8
	s_mov_b32 s2, exec_lo
	s_wait_kmcnt 0x0
	v_or_b32_e32 v4, s19, v6
	s_delay_alu instid0(VALU_DEP_1)
	v_cmpx_ne_u64_e32 0, v[3:4]
	s_wait_alu 0xfffe
	s_xor_b32 s20, exec_lo, s2
	s_cbranch_execz .LBB0_4
; %bb.3:                                ;   in Loop: Header=BB0_2 Depth=1
	s_cvt_f32_u32 s2, s18
	s_cvt_f32_u32 s21, s19
	s_sub_nc_u64 s[24:25], 0, s[18:19]
	s_wait_alu 0xfffe
	s_delay_alu instid0(SALU_CYCLE_1) | instskip(SKIP_1) | instid1(SALU_CYCLE_2)
	s_fmamk_f32 s2, s21, 0x4f800000, s2
	s_wait_alu 0xfffe
	v_s_rcp_f32 s2, s2
	s_delay_alu instid0(TRANS32_DEP_1) | instskip(SKIP_1) | instid1(SALU_CYCLE_2)
	s_mul_f32 s2, s2, 0x5f7ffffc
	s_wait_alu 0xfffe
	s_mul_f32 s21, s2, 0x2f800000
	s_wait_alu 0xfffe
	s_delay_alu instid0(SALU_CYCLE_2) | instskip(SKIP_1) | instid1(SALU_CYCLE_2)
	s_trunc_f32 s21, s21
	s_wait_alu 0xfffe
	s_fmamk_f32 s2, s21, 0xcf800000, s2
	s_cvt_u32_f32 s23, s21
	s_wait_alu 0xfffe
	s_delay_alu instid0(SALU_CYCLE_1) | instskip(SKIP_1) | instid1(SALU_CYCLE_2)
	s_cvt_u32_f32 s22, s2
	s_wait_alu 0xfffe
	s_mul_u64 s[26:27], s[24:25], s[22:23]
	s_wait_alu 0xfffe
	s_mul_hi_u32 s29, s22, s27
	s_mul_i32 s28, s22, s27
	s_mul_hi_u32 s2, s22, s26
	s_mul_i32 s30, s23, s26
	s_wait_alu 0xfffe
	s_add_nc_u64 s[28:29], s[2:3], s[28:29]
	s_mul_hi_u32 s21, s23, s26
	s_mul_hi_u32 s31, s23, s27
	s_add_co_u32 s2, s28, s30
	s_wait_alu 0xfffe
	s_add_co_ci_u32 s2, s29, s21
	s_mul_i32 s26, s23, s27
	s_add_co_ci_u32 s27, s31, 0
	s_wait_alu 0xfffe
	s_add_nc_u64 s[26:27], s[2:3], s[26:27]
	s_wait_alu 0xfffe
	v_add_co_u32 v4, s2, s22, s26
	s_delay_alu instid0(VALU_DEP_1) | instskip(SKIP_1) | instid1(VALU_DEP_1)
	s_cmp_lg_u32 s2, 0
	s_add_co_ci_u32 s23, s23, s27
	v_readfirstlane_b32 s22, v4
	s_wait_alu 0xfffe
	s_delay_alu instid0(VALU_DEP_1)
	s_mul_u64 s[24:25], s[24:25], s[22:23]
	s_wait_alu 0xfffe
	s_mul_hi_u32 s27, s22, s25
	s_mul_i32 s26, s22, s25
	s_mul_hi_u32 s2, s22, s24
	s_mul_i32 s28, s23, s24
	s_wait_alu 0xfffe
	s_add_nc_u64 s[26:27], s[2:3], s[26:27]
	s_mul_hi_u32 s21, s23, s24
	s_mul_hi_u32 s22, s23, s25
	s_wait_alu 0xfffe
	s_add_co_u32 s2, s26, s28
	s_add_co_ci_u32 s2, s27, s21
	s_mul_i32 s24, s23, s25
	s_add_co_ci_u32 s25, s22, 0
	s_wait_alu 0xfffe
	s_add_nc_u64 s[24:25], s[2:3], s[24:25]
	s_wait_alu 0xfffe
	v_add_co_u32 v4, s2, v4, s24
	s_delay_alu instid0(VALU_DEP_1) | instskip(SKIP_1) | instid1(VALU_DEP_1)
	s_cmp_lg_u32 s2, 0
	s_add_co_ci_u32 s2, s23, s25
	v_mul_hi_u32 v14, v5, v4
	s_wait_alu 0xfffe
	v_mad_co_u64_u32 v[7:8], null, v5, s2, 0
	v_mad_co_u64_u32 v[10:11], null, v6, v4, 0
	;; [unrolled: 1-line block ×3, first 2 shown]
	s_delay_alu instid0(VALU_DEP_3) | instskip(SKIP_1) | instid1(VALU_DEP_4)
	v_add_co_u32 v4, vcc_lo, v14, v7
	s_wait_alu 0xfffd
	v_add_co_ci_u32_e32 v7, vcc_lo, 0, v8, vcc_lo
	s_delay_alu instid0(VALU_DEP_2) | instskip(SKIP_1) | instid1(VALU_DEP_2)
	v_add_co_u32 v4, vcc_lo, v4, v10
	s_wait_alu 0xfffd
	v_add_co_ci_u32_e32 v4, vcc_lo, v7, v11, vcc_lo
	s_wait_alu 0xfffd
	v_add_co_ci_u32_e32 v7, vcc_lo, 0, v13, vcc_lo
	s_delay_alu instid0(VALU_DEP_2) | instskip(SKIP_1) | instid1(VALU_DEP_2)
	v_add_co_u32 v4, vcc_lo, v4, v12
	s_wait_alu 0xfffd
	v_add_co_ci_u32_e32 v10, vcc_lo, 0, v7, vcc_lo
	s_delay_alu instid0(VALU_DEP_2) | instskip(SKIP_1) | instid1(VALU_DEP_3)
	v_mul_lo_u32 v11, s19, v4
	v_mad_co_u64_u32 v[7:8], null, s18, v4, 0
	v_mul_lo_u32 v12, s18, v10
	s_delay_alu instid0(VALU_DEP_2) | instskip(NEXT) | instid1(VALU_DEP_2)
	v_sub_co_u32 v7, vcc_lo, v5, v7
	v_add3_u32 v8, v8, v12, v11
	s_delay_alu instid0(VALU_DEP_1) | instskip(SKIP_1) | instid1(VALU_DEP_1)
	v_sub_nc_u32_e32 v11, v6, v8
	s_wait_alu 0xfffd
	v_subrev_co_ci_u32_e64 v11, s2, s19, v11, vcc_lo
	v_add_co_u32 v12, s2, v4, 2
	s_wait_alu 0xf1ff
	v_add_co_ci_u32_e64 v13, s2, 0, v10, s2
	v_sub_co_u32 v14, s2, v7, s18
	v_sub_co_ci_u32_e32 v8, vcc_lo, v6, v8, vcc_lo
	s_wait_alu 0xf1ff
	v_subrev_co_ci_u32_e64 v11, s2, 0, v11, s2
	s_delay_alu instid0(VALU_DEP_3) | instskip(NEXT) | instid1(VALU_DEP_3)
	v_cmp_le_u32_e32 vcc_lo, s18, v14
	v_cmp_eq_u32_e64 s2, s19, v8
	s_wait_alu 0xfffd
	v_cndmask_b32_e64 v14, 0, -1, vcc_lo
	v_cmp_le_u32_e32 vcc_lo, s19, v11
	s_wait_alu 0xfffd
	v_cndmask_b32_e64 v15, 0, -1, vcc_lo
	v_cmp_le_u32_e32 vcc_lo, s18, v7
	;; [unrolled: 3-line block ×3, first 2 shown]
	s_wait_alu 0xfffd
	v_cndmask_b32_e64 v16, 0, -1, vcc_lo
	v_cmp_eq_u32_e32 vcc_lo, s19, v11
	s_wait_alu 0xf1ff
	s_delay_alu instid0(VALU_DEP_2)
	v_cndmask_b32_e64 v7, v16, v7, s2
	s_wait_alu 0xfffd
	v_cndmask_b32_e32 v11, v15, v14, vcc_lo
	v_add_co_u32 v14, vcc_lo, v4, 1
	s_wait_alu 0xfffd
	v_add_co_ci_u32_e32 v15, vcc_lo, 0, v10, vcc_lo
	s_delay_alu instid0(VALU_DEP_3) | instskip(SKIP_1) | instid1(VALU_DEP_2)
	v_cmp_ne_u32_e32 vcc_lo, 0, v11
	s_wait_alu 0xfffd
	v_dual_cndmask_b32 v8, v15, v13 :: v_dual_cndmask_b32 v11, v14, v12
	v_cmp_ne_u32_e32 vcc_lo, 0, v7
	s_wait_alu 0xfffd
	s_delay_alu instid0(VALU_DEP_2)
	v_dual_cndmask_b32 v8, v10, v8 :: v_dual_cndmask_b32 v7, v4, v11
.LBB0_4:                                ;   in Loop: Header=BB0_2 Depth=1
	s_wait_alu 0xfffe
	s_and_not1_saveexec_b32 s2, s20
	s_cbranch_execz .LBB0_6
; %bb.5:                                ;   in Loop: Header=BB0_2 Depth=1
	v_cvt_f32_u32_e32 v4, s18
	s_sub_co_i32 s20, 0, s18
	s_delay_alu instid0(VALU_DEP_1) | instskip(NEXT) | instid1(TRANS32_DEP_1)
	v_rcp_iflag_f32_e32 v4, v4
	v_mul_f32_e32 v4, 0x4f7ffffe, v4
	s_delay_alu instid0(VALU_DEP_1) | instskip(SKIP_1) | instid1(VALU_DEP_1)
	v_cvt_u32_f32_e32 v4, v4
	s_wait_alu 0xfffe
	v_mul_lo_u32 v7, s20, v4
	s_delay_alu instid0(VALU_DEP_1) | instskip(NEXT) | instid1(VALU_DEP_1)
	v_mul_hi_u32 v7, v4, v7
	v_add_nc_u32_e32 v4, v4, v7
	s_delay_alu instid0(VALU_DEP_1) | instskip(NEXT) | instid1(VALU_DEP_1)
	v_mul_hi_u32 v4, v5, v4
	v_mul_lo_u32 v7, v4, s18
	v_add_nc_u32_e32 v8, 1, v4
	s_delay_alu instid0(VALU_DEP_2) | instskip(NEXT) | instid1(VALU_DEP_1)
	v_sub_nc_u32_e32 v7, v5, v7
	v_subrev_nc_u32_e32 v10, s18, v7
	v_cmp_le_u32_e32 vcc_lo, s18, v7
	s_wait_alu 0xfffd
	s_delay_alu instid0(VALU_DEP_2) | instskip(NEXT) | instid1(VALU_DEP_1)
	v_dual_cndmask_b32 v7, v7, v10 :: v_dual_cndmask_b32 v4, v4, v8
	v_cmp_le_u32_e32 vcc_lo, s18, v7
	s_delay_alu instid0(VALU_DEP_2) | instskip(SKIP_1) | instid1(VALU_DEP_1)
	v_add_nc_u32_e32 v8, 1, v4
	s_wait_alu 0xfffd
	v_dual_cndmask_b32 v7, v4, v8 :: v_dual_mov_b32 v8, v3
.LBB0_6:                                ;   in Loop: Header=BB0_2 Depth=1
	s_wait_alu 0xfffe
	s_or_b32 exec_lo, exec_lo, s2
	s_load_b64 s[20:21], s[12:13], 0x0
	s_delay_alu instid0(VALU_DEP_1)
	v_mul_lo_u32 v4, v8, s18
	v_mul_lo_u32 v12, v7, s19
	v_mad_co_u64_u32 v[10:11], null, v7, s18, 0
	s_add_nc_u64 s[14:15], s[14:15], 1
	s_add_nc_u64 s[12:13], s[12:13], 8
	s_wait_alu 0xfffe
	v_cmp_ge_u64_e64 s2, s[14:15], s[6:7]
	s_add_nc_u64 s[16:17], s[16:17], 8
	s_delay_alu instid0(VALU_DEP_2) | instskip(NEXT) | instid1(VALU_DEP_3)
	v_add3_u32 v4, v11, v12, v4
	v_sub_co_u32 v5, vcc_lo, v5, v10
	s_wait_alu 0xfffd
	s_delay_alu instid0(VALU_DEP_2) | instskip(SKIP_3) | instid1(VALU_DEP_2)
	v_sub_co_ci_u32_e32 v4, vcc_lo, v6, v4, vcc_lo
	s_and_b32 vcc_lo, exec_lo, s2
	s_wait_kmcnt 0x0
	v_mul_lo_u32 v6, s21, v5
	v_mul_lo_u32 v4, s20, v4
	v_mad_co_u64_u32 v[1:2], null, s20, v5, v[1:2]
	s_delay_alu instid0(VALU_DEP_1)
	v_add3_u32 v2, v6, v2, v4
	s_wait_alu 0xfffe
	s_cbranch_vccnz .LBB0_9
; %bb.7:                                ;   in Loop: Header=BB0_2 Depth=1
	v_dual_mov_b32 v5, v7 :: v_dual_mov_b32 v6, v8
	s_branch .LBB0_2
.LBB0_8:
	v_dual_mov_b32 v8, v6 :: v_dual_mov_b32 v7, v5
.LBB0_9:
	s_lshl_b64 s[2:3], s[6:7], 3
	v_mul_hi_u32 v3, 0x2828283, v0
	s_wait_alu 0xfffe
	s_add_nc_u64 s[2:3], s[10:11], s[2:3]
	v_and_b32_e32 v6, 1, v9
	s_load_b64 s[2:3], s[2:3], 0x0
	s_load_b64 s[0:1], s[0:1], 0x20
	s_delay_alu instid0(VALU_DEP_1) | instskip(NEXT) | instid1(VALU_DEP_3)
	v_cmp_eq_u32_e32 vcc_lo, 1, v6
	v_mul_u32_u24_e32 v3, 0x66, v3
	s_delay_alu instid0(VALU_DEP_1) | instskip(NEXT) | instid1(VALU_DEP_1)
	v_sub_nc_u32_e32 v88, v0, v3
	v_lshlrev_b32_e32 v53, 4, v88
	s_wait_kmcnt 0x0
	v_mul_lo_u32 v4, s2, v8
	v_mul_lo_u32 v5, s3, v7
	v_mad_co_u64_u32 v[1:2], null, s2, v7, v[1:2]
	s_delay_alu instid0(VALU_DEP_1) | instskip(SKIP_3) | instid1(VALU_DEP_3)
	v_add3_u32 v2, v5, v2, v4
	s_wait_alu 0xfffd
	v_cndmask_b32_e64 v4, 0, 0x52f, vcc_lo
	v_cmp_gt_u64_e32 vcc_lo, s[0:1], v[7:8]
	v_lshlrev_b64_e32 v[0:1], 4, v[1:2]
	s_delay_alu instid0(VALU_DEP_3)
	v_lshlrev_b32_e32 v216, 4, v4
	scratch_store_b64 off, v[0:1], off      ; 8-byte Folded Spill
	s_and_saveexec_b32 s1, vcc_lo
	s_cbranch_execz .LBB0_11
; %bb.10:
	scratch_load_b64 v[2:3], off, off       ; 8-byte Folded Reload
	v_mov_b32_e32 v89, 0
	v_add3_u32 v52, 0, v216, v53
	s_delay_alu instid0(VALU_DEP_2) | instskip(SKIP_4) | instid1(VALU_DEP_2)
	v_lshlrev_b64_e32 v[0:1], 4, v[88:89]
	s_wait_loadcnt 0x0
	v_add_co_u32 v2, s0, s8, v2
	s_wait_alu 0xf1ff
	v_add_co_ci_u32_e64 v3, s0, s9, v3, s0
	v_add_co_u32 v48, s0, v2, v0
	s_wait_alu 0xf1ff
	s_delay_alu instid0(VALU_DEP_2)
	v_add_co_ci_u32_e64 v49, s0, v3, v1, s0
	s_clause 0xc
	global_load_b128 v[0:3], v[48:49], off
	global_load_b128 v[4:7], v[48:49], off offset:1632
	global_load_b128 v[8:11], v[48:49], off offset:3264
	global_load_b128 v[12:15], v[48:49], off offset:4896
	global_load_b128 v[16:19], v[48:49], off offset:6528
	global_load_b128 v[20:23], v[48:49], off offset:8160
	global_load_b128 v[24:27], v[48:49], off offset:9792
	global_load_b128 v[28:31], v[48:49], off offset:11424
	global_load_b128 v[32:35], v[48:49], off offset:13056
	global_load_b128 v[36:39], v[48:49], off offset:14688
	global_load_b128 v[40:43], v[48:49], off offset:16320
	global_load_b128 v[44:47], v[48:49], off offset:17952
	global_load_b128 v[48:51], v[48:49], off offset:19584
	s_wait_loadcnt 0xc
	ds_store_b128 v52, v[0:3]
	s_wait_loadcnt 0xb
	ds_store_b128 v52, v[4:7] offset:1632
	s_wait_loadcnt 0xa
	ds_store_b128 v52, v[8:11] offset:3264
	s_wait_loadcnt 0x9
	ds_store_b128 v52, v[12:15] offset:4896
	s_wait_loadcnt 0x8
	ds_store_b128 v52, v[16:19] offset:6528
	s_wait_loadcnt 0x7
	ds_store_b128 v52, v[20:23] offset:8160
	s_wait_loadcnt 0x6
	ds_store_b128 v52, v[24:27] offset:9792
	s_wait_loadcnt 0x5
	ds_store_b128 v52, v[28:31] offset:11424
	s_wait_loadcnt 0x4
	ds_store_b128 v52, v[32:35] offset:13056
	s_wait_loadcnt 0x3
	ds_store_b128 v52, v[36:39] offset:14688
	s_wait_loadcnt 0x2
	ds_store_b128 v52, v[40:43] offset:16320
	s_wait_loadcnt 0x1
	ds_store_b128 v52, v[44:47] offset:17952
	s_wait_loadcnt 0x0
	ds_store_b128 v52, v[48:51] offset:19584
.LBB0_11:
	s_wait_alu 0xfffe
	s_or_b32 exec_lo, exec_lo, s1
	v_add3_u32 v214, 0, v53, v216
	global_wb scope:SCOPE_SE
	s_wait_storecnt_dscnt 0x0
	s_barrier_signal -1
	s_barrier_wait -1
	global_inv scope:SCOPE_SE
	ds_load_b128 v[20:23], v214 offset:19968
	ds_load_b128 v[36:39], v214 offset:1248
	s_mov_b32 s16, 0x5d8e7cdc
	s_mov_b32 s17, 0xbfd71e95
	v_add_nc_u32_e32 v215, 0, v216
	s_mov_b32 s10, 0x370991
	s_mov_b32 s6, 0x2a9d6da3
	;; [unrolled: 1-line block ×4, first 2 shown]
	v_add_nc_u32_e32 v91, v215, v53
	s_mov_b32 s2, 0x75d4884
	s_mov_b32 s3, 0x3fe7a5f6
	;; [unrolled: 1-line block ×4, first 2 shown]
	ds_load_b128 v[24:27], v91
	s_mov_b32 s12, 0x2b2883cd
	s_mov_b32 s13, 0x3fdc86fa
	;; [unrolled: 1-line block ×6, first 2 shown]
	s_wait_dscnt 0x1
	v_add_f64_e64 v[180:181], v[38:39], -v[22:23]
	v_add_f64_e32 v[176:177], v[36:37], v[20:21]
	v_add_f64_e32 v[186:187], v[38:39], v[22:23]
	v_add_f64_e64 v[182:183], v[36:37], -v[20:21]
	s_mov_b32 s24, 0x923c349f
	s_mov_b32 s25, 0xbfeec746
	;; [unrolled: 1-line block ×19, first 2 shown]
	s_wait_alu 0xfffe
	s_mov_b32 s44, s24
	s_mov_b32 s43, 0x3feca52d
	;; [unrolled: 1-line block ×13, first 2 shown]
	s_mov_b32 s1, exec_lo
	v_mul_f64_e32 v[0:1], s[16:17], v[180:181]
	scratch_store_b32 off, v53, off offset:8 ; 4-byte Folded Spill
	v_mul_f64_e32 v[198:199], s[6:7], v[180:181]
	v_mul_f64_e32 v[200:201], s[2:3], v[186:187]
	;; [unrolled: 1-line block ×8, first 2 shown]
	scratch_store_b64 off, v[0:1], off offset:124 ; 8-byte Folded Spill
	ds_load_b128 v[28:31], v214 offset:18720
	ds_load_b128 v[40:43], v214 offset:2496
	v_fma_f64 v[0:1], v[176:177], s[10:11], -v[0:1]
	ds_load_b128 v[48:51], v214 offset:3744
	ds_load_b128 v[32:35], v214 offset:17472
	s_wait_dscnt 0x2
	v_add_f64_e64 v[120:121], v[42:43], -v[30:31]
	v_add_f64_e32 v[92:93], v[40:41], v[28:29]
	v_add_f64_e32 v[108:109], v[42:43], v[30:31]
	v_add_f64_e64 v[96:97], v[40:41], -v[28:29]
	s_wait_dscnt 0x0
	v_add_f64_e64 v[122:123], v[50:51], -v[34:35]
	v_add_f64_e32 v[100:101], v[48:49], v[32:33]
	v_add_f64_e32 v[110:111], v[50:51], v[34:35]
	v_add_f64_e64 v[104:105], v[48:49], -v[32:33]
	v_add_f64_e32 v[0:1], v[24:25], v[0:1]
	v_mul_f64_e32 v[2:3], s[6:7], v[120:121]
	v_mul_f64_e32 v[6:7], s[20:21], v[120:121]
	v_mul_f64_e32 v[4:5], s[2:3], v[108:109]
	v_mul_f64_e32 v[8:9], s[18:19], v[108:109]
	v_mul_f64_e32 v[10:11], s[28:29], v[120:121]
	v_mul_f64_e32 v[14:15], s[38:39], v[120:121]
	v_mul_f64_e32 v[12:13], s[26:27], v[108:109]
	v_mul_f64_e32 v[230:231], s[36:37], v[110:111]
	v_mul_f64_e32 v[232:233], s[36:37], v[108:109]
	v_mul_f64_e32 v[252:253], s[22:23], v[110:111]
	v_mul_f64_e32 v[222:223], s[40:41], v[120:121]
	v_mul_f64_e32 v[254:255], s[30:31], v[108:109]
	v_mul_f64_e32 v[238:239], s[46:47], v[122:123]
	v_mul_f64_e32 v[132:133], s[2:3], v[110:111]
	scratch_store_b64 off, v[2:3], off offset:12 ; 8-byte Folded Spill
	v_fma_f64 v[2:3], v[92:93], s[2:3], -v[2:3]
	scratch_store_b64 off, v[4:5], off offset:20 ; 8-byte Folded Spill
	v_fma_f64 v[4:5], v[96:97], s[6:7], v[4:5]
	v_fma_f64 v[16:17], v[96:97], s[38:39], v[232:233]
	;; [unrolled: 1-line block ×3, first 2 shown]
	v_add_f64_e32 v[0:1], v[2:3], v[0:1]
	v_mul_f64_e32 v[2:3], s[10:11], v[186:187]
	scratch_store_b64 off, v[2:3], off offset:132 ; 8-byte Folded Spill
	v_fma_f64 v[2:3], v[182:183], s[16:17], v[2:3]
	s_delay_alu instid0(VALU_DEP_1) | instskip(NEXT) | instid1(VALU_DEP_1)
	v_add_f64_e32 v[2:3], v[26:27], v[2:3]
	v_add_f64_e32 v[2:3], v[4:5], v[2:3]
	v_mul_f64_e32 v[4:5], s[14:15], v[122:123]
	scratch_store_b64 off, v[4:5], off offset:28 ; 8-byte Folded Spill
	v_fma_f64 v[4:5], v[100:101], s[12:13], -v[4:5]
	s_delay_alu instid0(VALU_DEP_1)
	v_add_f64_e32 v[0:1], v[4:5], v[0:1]
	v_mul_f64_e32 v[4:5], s[12:13], v[110:111]
	scratch_store_b64 off, v[4:5], off offset:36 ; 8-byte Folded Spill
	ds_load_b128 v[44:47], v214 offset:16224
	ds_load_b128 v[56:59], v214 offset:4992
	;; [unrolled: 1-line block ×4, first 2 shown]
	v_fma_f64 v[4:5], v[104:105], s[14:15], v[4:5]
	s_wait_dscnt 0x2
	v_add_f64_e64 v[136:137], v[58:59], -v[46:47]
	v_add_f64_e32 v[112:113], v[56:57], v[44:45]
	v_add_f64_e32 v[128:129], v[58:59], v[46:47]
	v_add_f64_e64 v[116:117], v[56:57], -v[44:45]
	s_wait_dscnt 0x0
	v_add_f64_e64 v[142:143], v[62:63], -v[54:55]
	v_add_f64_e32 v[124:125], v[60:61], v[52:53]
	v_add_f64_e32 v[134:135], v[62:63], v[54:55]
	v_add_f64_e64 v[130:131], v[60:61], -v[52:53]
	v_add_f64_e32 v[2:3], v[4:5], v[2:3]
	v_mul_f64_e32 v[4:5], s[20:21], v[136:137]
	v_mul_f64_e32 v[224:225], s[48:49], v[136:137]
	;; [unrolled: 1-line block ×13, first 2 shown]
	scratch_store_b64 off, v[4:5], off offset:44 ; 8-byte Folded Spill
	v_fma_f64 v[4:5], v[112:113], s[18:19], -v[4:5]
	s_delay_alu instid0(VALU_DEP_1) | instskip(SKIP_3) | instid1(VALU_DEP_1)
	v_add_f64_e32 v[0:1], v[4:5], v[0:1]
	v_mul_f64_e32 v[4:5], s[18:19], v[128:129]
	scratch_store_b64 off, v[4:5], off offset:52 ; 8-byte Folded Spill
	v_fma_f64 v[4:5], v[116:117], s[20:21], v[4:5]
	v_add_f64_e32 v[2:3], v[4:5], v[2:3]
	v_mul_f64_e32 v[4:5], s[24:25], v[142:143]
	scratch_store_b64 off, v[4:5], off offset:60 ; 8-byte Folded Spill
	v_fma_f64 v[4:5], v[124:125], s[22:23], -v[4:5]
	s_delay_alu instid0(VALU_DEP_1)
	v_add_f64_e32 v[0:1], v[4:5], v[0:1]
	v_mul_f64_e32 v[4:5], s[22:23], v[134:135]
	scratch_store_b64 off, v[4:5], off offset:68 ; 8-byte Folded Spill
	ds_load_b128 v[64:67], v214 offset:13728
	ds_load_b128 v[68:71], v214 offset:7488
	;; [unrolled: 1-line block ×4, first 2 shown]
	v_fma_f64 v[4:5], v[130:131], s[24:25], v[4:5]
	s_wait_dscnt 0x2
	v_add_f64_e64 v[168:169], v[70:71], -v[66:67]
	v_add_f64_e32 v[138:139], v[68:69], v[64:65]
	v_add_f64_e32 v[156:157], v[70:71], v[66:67]
	v_add_f64_e64 v[144:145], v[68:69], -v[64:65]
	s_wait_dscnt 0x0
	v_add_f64_e64 v[170:171], v[78:79], -v[74:75]
	v_add_f64_e32 v[148:149], v[76:77], v[72:73]
	v_add_f64_e32 v[166:167], v[78:79], v[74:75]
	v_add_f64_e64 v[152:153], v[76:77], -v[72:73]
	v_add_f64_e32 v[2:3], v[4:5], v[2:3]
	v_mul_f64_e32 v[4:5], s[28:29], v[168:169]
	v_mul_f64_e32 v[226:227], s[44:45], v[168:169]
	;; [unrolled: 1-line block ×15, first 2 shown]
	scratch_store_b64 off, v[4:5], off offset:76 ; 8-byte Folded Spill
	v_fma_f64 v[4:5], v[138:139], s[26:27], -v[4:5]
	s_delay_alu instid0(VALU_DEP_1) | instskip(SKIP_3) | instid1(VALU_DEP_1)
	v_add_f64_e32 v[0:1], v[4:5], v[0:1]
	v_mul_f64_e32 v[4:5], s[26:27], v[156:157]
	scratch_store_b64 off, v[4:5], off offset:84 ; 8-byte Folded Spill
	v_fma_f64 v[4:5], v[144:145], s[28:29], v[4:5]
	v_add_f64_e32 v[2:3], v[4:5], v[2:3]
	v_mul_f64_e32 v[4:5], s[34:35], v[170:171]
	scratch_store_b64 off, v[4:5], off offset:92 ; 8-byte Folded Spill
	v_fma_f64 v[4:5], v[148:149], s[30:31], -v[4:5]
	s_delay_alu instid0(VALU_DEP_1)
	v_add_f64_e32 v[0:1], v[4:5], v[0:1]
	v_mul_f64_e32 v[4:5], s[30:31], v[166:167]
	scratch_store_b64 off, v[4:5], off offset:100 ; 8-byte Folded Spill
	ds_load_b128 v[84:87], v214 offset:9984
	ds_load_b128 v[80:83], v214 offset:11232
	v_fma_f64 v[4:5], v[152:153], s[34:35], v[4:5]
	s_clause 0x1
	scratch_store_b64 off, v[6:7], off offset:140
	scratch_store_b64 off, v[10:11], off offset:172
	v_fma_f64 v[6:7], v[92:93], s[18:19], -v[6:7]
	scratch_store_b64 off, v[8:9], off offset:164 ; 8-byte Folded Spill
	v_fma_f64 v[8:9], v[96:97], s[20:21], v[8:9]
	v_fma_f64 v[10:11], v[92:93], s[26:27], -v[10:11]
	scratch_store_b64 off, v[12:13], off offset:236 ; 8-byte Folded Spill
	v_fma_f64 v[12:13], v[96:97], s[28:29], v[12:13]
	scratch_store_b64 off, v[14:15], off offset:220 ; 8-byte Folded Spill
	v_fma_f64 v[14:15], v[92:93], s[36:37], -v[14:15]
	s_wait_dscnt 0x0
	v_add_f64_e64 v[174:175], v[86:87], -v[82:83]
	v_add_f64_e32 v[158:159], v[84:85], v[80:81]
	v_add_f64_e32 v[172:173], v[86:87], v[82:83]
	v_add_f64_e64 v[162:163], v[84:85], -v[80:81]
	v_add_f64_e32 v[2:3], v[4:5], v[2:3]
	v_mul_f64_e32 v[4:5], s[38:39], v[174:175]
	v_mul_f64_e32 v[228:229], s[34:35], v[174:175]
	;; [unrolled: 1-line block ×6, first 2 shown]
	scratch_store_b64 off, v[4:5], off offset:108 ; 8-byte Folded Spill
	v_fma_f64 v[4:5], v[158:159], s[36:37], -v[4:5]
	s_delay_alu instid0(VALU_DEP_1) | instskip(SKIP_3) | instid1(VALU_DEP_1)
	v_add_f64_e32 v[0:1], v[4:5], v[0:1]
	v_mul_f64_e32 v[4:5], s[36:37], v[172:173]
	scratch_store_b64 off, v[4:5], off offset:116 ; 8-byte Folded Spill
	v_fma_f64 v[4:5], v[162:163], s[38:39], v[4:5]
	v_add_f64_e32 v[2:3], v[4:5], v[2:3]
	v_fma_f64 v[4:5], v[176:177], s[2:3], -v[198:199]
	s_delay_alu instid0(VALU_DEP_1) | instskip(NEXT) | instid1(VALU_DEP_1)
	v_add_f64_e32 v[4:5], v[24:25], v[4:5]
	v_add_f64_e32 v[4:5], v[6:7], v[4:5]
	v_fma_f64 v[6:7], v[182:183], s[6:7], v[200:201]
	s_delay_alu instid0(VALU_DEP_1) | instskip(NEXT) | instid1(VALU_DEP_1)
	v_add_f64_e32 v[6:7], v[26:27], v[6:7]
	v_add_f64_e32 v[6:7], v[8:9], v[6:7]
	v_mul_f64_e32 v[8:9], s[28:29], v[122:123]
	scratch_store_b64 off, v[8:9], off offset:148 ; 8-byte Folded Spill
	v_fma_f64 v[8:9], v[100:101], s[26:27], -v[8:9]
	s_delay_alu instid0(VALU_DEP_1) | instskip(SKIP_3) | instid1(VALU_DEP_1)
	v_add_f64_e32 v[4:5], v[8:9], v[4:5]
	v_mul_f64_e32 v[8:9], s[26:27], v[110:111]
	scratch_store_b64 off, v[8:9], off offset:180 ; 8-byte Folded Spill
	v_fma_f64 v[8:9], v[104:105], s[28:29], v[8:9]
	v_add_f64_e32 v[6:7], v[8:9], v[6:7]
	v_mul_f64_e32 v[8:9], s[38:39], v[136:137]
	scratch_store_b64 off, v[8:9], off offset:156 ; 8-byte Folded Spill
	v_fma_f64 v[8:9], v[112:113], s[36:37], -v[8:9]
	s_delay_alu instid0(VALU_DEP_1) | instskip(SKIP_3) | instid1(VALU_DEP_1)
	v_add_f64_e32 v[4:5], v[8:9], v[4:5]
	v_mul_f64_e32 v[8:9], s[36:37], v[128:129]
	scratch_store_b64 off, v[8:9], off offset:244 ; 8-byte Folded Spill
	v_fma_f64 v[8:9], v[116:117], s[38:39], v[8:9]
	v_add_f64_e32 v[6:7], v[8:9], v[6:7]
	v_mul_f64_e32 v[8:9], s[40:41], v[142:143]
	scratch_store_b64 off, v[8:9], off offset:196 ; 8-byte Folded Spill
	v_fma_f64 v[8:9], v[124:125], s[30:31], -v[8:9]
	s_delay_alu instid0(VALU_DEP_1) | instskip(SKIP_1) | instid1(VALU_DEP_1)
	v_add_f64_e32 v[4:5], v[8:9], v[4:5]
	v_fma_f64 v[8:9], v[130:131], s[40:41], v[234:235]
	v_add_f64_e32 v[6:7], v[8:9], v[6:7]
	v_fma_f64 v[8:9], v[138:139], s[22:23], -v[226:227]
	s_delay_alu instid0(VALU_DEP_1) | instskip(SKIP_1) | instid1(VALU_DEP_1)
	v_add_f64_e32 v[4:5], v[8:9], v[4:5]
	v_fma_f64 v[8:9], v[144:145], s[44:45], v[94:95]
	v_add_f64_e32 v[6:7], v[8:9], v[6:7]
	v_mul_f64_e32 v[8:9], s[42:43], v[170:171]
	scratch_store_b64 off, v[8:9], off offset:204 ; 8-byte Folded Spill
	v_fma_f64 v[8:9], v[148:149], s[12:13], -v[8:9]
	s_delay_alu instid0(VALU_DEP_1) | instskip(SKIP_3) | instid1(VALU_DEP_1)
	v_add_f64_e32 v[4:5], v[8:9], v[4:5]
	v_mul_f64_e32 v[8:9], s[12:13], v[166:167]
	scratch_store_b64 off, v[8:9], off offset:252 ; 8-byte Folded Spill
	v_fma_f64 v[8:9], v[152:153], s[42:43], v[8:9]
	v_add_f64_e32 v[6:7], v[8:9], v[6:7]
	v_mul_f64_e32 v[8:9], s[48:49], v[174:175]
	scratch_store_b64 off, v[8:9], off offset:212 ; 8-byte Folded Spill
	v_fma_f64 v[8:9], v[158:159], s[10:11], -v[8:9]
	s_delay_alu instid0(VALU_DEP_1) | instskip(SKIP_1) | instid1(VALU_DEP_1)
	v_add_f64_e32 v[4:5], v[8:9], v[4:5]
	v_fma_f64 v[8:9], v[162:163], s[48:49], v[220:221]
	v_add_f64_e32 v[6:7], v[8:9], v[6:7]
	v_fma_f64 v[8:9], v[176:177], s[12:13], -v[202:203]
	s_delay_alu instid0(VALU_DEP_1) | instskip(NEXT) | instid1(VALU_DEP_1)
	v_add_f64_e32 v[8:9], v[24:25], v[8:9]
	v_add_f64_e32 v[8:9], v[10:11], v[8:9]
	v_fma_f64 v[10:11], v[182:183], s[14:15], v[204:205]
	s_delay_alu instid0(VALU_DEP_1) | instskip(NEXT) | instid1(VALU_DEP_1)
	v_add_f64_e32 v[10:11], v[26:27], v[10:11]
	v_add_f64_e32 v[10:11], v[12:13], v[10:11]
	v_mul_f64_e32 v[12:13], s[52:53], v[122:123]
	scratch_store_b64 off, v[12:13], off offset:188 ; 8-byte Folded Spill
	v_fma_f64 v[12:13], v[100:101], s[36:37], -v[12:13]
	s_delay_alu instid0(VALU_DEP_1) | instskip(SKIP_1) | instid1(VALU_DEP_1)
	v_add_f64_e32 v[8:9], v[12:13], v[8:9]
	v_fma_f64 v[12:13], v[104:105], s[52:53], v[230:231]
	v_add_f64_e32 v[10:11], v[12:13], v[10:11]
	v_mul_f64_e32 v[12:13], s[44:45], v[136:137]
	scratch_store_b64 off, v[12:13], off offset:228 ; 8-byte Folded Spill
	v_fma_f64 v[12:13], v[112:113], s[22:23], -v[12:13]
	s_delay_alu instid0(VALU_DEP_1) | instskip(SKIP_1) | instid1(VALU_DEP_1)
	v_add_f64_e32 v[8:9], v[12:13], v[8:9]
	v_fma_f64 v[12:13], v[116:117], s[44:45], v[246:247]
	v_add_f64_e32 v[10:11], v[12:13], v[10:11]
	v_fma_f64 v[12:13], v[124:125], s[2:3], -v[240:241]
	s_delay_alu instid0(VALU_DEP_1) | instskip(SKIP_1) | instid1(VALU_DEP_1)
	v_add_f64_e32 v[8:9], v[12:13], v[8:9]
	v_fma_f64 v[12:13], v[130:131], s[46:47], v[140:141]
	v_add_f64_e32 v[10:11], v[12:13], v[10:11]
	;; [unrolled: 5-line block ×5, first 2 shown]
	v_fma_f64 v[12:13], v[176:177], s[18:19], -v[206:207]
	s_delay_alu instid0(VALU_DEP_1) | instskip(NEXT) | instid1(VALU_DEP_1)
	v_add_f64_e32 v[12:13], v[24:25], v[12:13]
	v_add_f64_e32 v[12:13], v[14:15], v[12:13]
	v_fma_f64 v[14:15], v[182:183], s[20:21], v[208:209]
	s_delay_alu instid0(VALU_DEP_1) | instskip(NEXT) | instid1(VALU_DEP_1)
	v_add_f64_e32 v[14:15], v[26:27], v[14:15]
	v_add_f64_e32 v[14:15], v[16:17], v[14:15]
	v_mul_f64_e32 v[16:17], s[44:45], v[122:123]
	scratch_store_b64 off, v[16:17], off offset:260 ; 8-byte Folded Spill
	v_fma_f64 v[16:17], v[100:101], s[22:23], -v[16:17]
	global_wb scope:SCOPE_SE
	s_wait_storecnt 0x0
	s_barrier_signal -1
	s_barrier_wait -1
	global_inv scope:SCOPE_SE
	v_add_f64_e32 v[12:13], v[16:17], v[12:13]
	v_fma_f64 v[16:17], v[104:105], s[44:45], v[252:253]
	s_delay_alu instid0(VALU_DEP_1) | instskip(SKIP_1) | instid1(VALU_DEP_1)
	v_add_f64_e32 v[14:15], v[16:17], v[14:15]
	v_fma_f64 v[16:17], v[112:113], s[10:11], -v[224:225]
	v_add_f64_e32 v[12:13], v[16:17], v[12:13]
	v_fma_f64 v[16:17], v[116:117], s[48:49], v[114:115]
	s_delay_alu instid0(VALU_DEP_1) | instskip(SKIP_1) | instid1(VALU_DEP_1)
	v_add_f64_e32 v[14:15], v[16:17], v[14:15]
	v_fma_f64 v[16:17], v[124:125], s[12:13], -v[98:99]
	;; [unrolled: 5-line block ×5, first 2 shown]
	v_add_f64_e32 v[16:17], v[16:17], v[12:13]
	v_fma_f64 v[12:13], v[162:163], s[46:47], v[106:107]
	s_delay_alu instid0(VALU_DEP_1) | instskip(SKIP_2) | instid1(VALU_DEP_2)
	v_add_f64_e32 v[18:19], v[12:13], v[14:15]
	v_fma_f64 v[12:13], v[176:177], s[22:23], -v[210:211]
	v_fma_f64 v[14:15], v[92:93], s[30:31], -v[222:223]
	v_add_f64_e32 v[12:13], v[24:25], v[12:13]
	s_delay_alu instid0(VALU_DEP_1) | instskip(SKIP_1) | instid1(VALU_DEP_1)
	v_add_f64_e32 v[12:13], v[14:15], v[12:13]
	v_fma_f64 v[14:15], v[182:183], s[24:25], v[212:213]
	v_add_f64_e32 v[14:15], v[26:27], v[14:15]
	s_delay_alu instid0(VALU_DEP_1) | instskip(SKIP_1) | instid1(VALU_DEP_1)
	v_add_f64_e32 v[14:15], v[126:127], v[14:15]
	v_fma_f64 v[126:127], v[100:101], s[2:3], -v[238:239]
	v_add_f64_e32 v[12:13], v[126:127], v[12:13]
	v_fma_f64 v[126:127], v[104:105], s[46:47], v[132:133]
	s_delay_alu instid0(VALU_DEP_1) | instskip(SKIP_1) | instid1(VALU_DEP_1)
	v_add_f64_e32 v[14:15], v[126:127], v[14:15]
	v_fma_f64 v[126:127], v[112:113], s[12:13], -v[242:243]
	v_add_f64_e32 v[12:13], v[126:127], v[12:13]
	v_fma_f64 v[126:127], v[116:117], s[14:15], v[178:179]
	;; [unrolled: 5-line block ×5, first 2 shown]
	s_delay_alu instid0(VALU_DEP_1) | instskip(SKIP_1) | instid1(VALU_DEP_1)
	v_add_f64_e32 v[14:15], v[126:127], v[14:15]
	v_mul_f64_e32 v[126:127], s[28:29], v[174:175]
	v_fma_f64 v[164:165], v[158:159], s[26:27], -v[126:127]
	s_delay_alu instid0(VALU_DEP_1) | instskip(SKIP_1) | instid1(VALU_DEP_1)
	v_add_f64_e32 v[12:13], v[164:165], v[12:13]
	v_mul_f64_e32 v[164:165], s[26:27], v[172:173]
	v_fma_f64 v[217:218], v[162:163], s[28:29], v[164:165]
	s_delay_alu instid0(VALU_DEP_1)
	v_add_f64_e32 v[14:15], v[217:218], v[14:15]
	v_cmpx_gt_u32_e32 0x4e, v88
	s_cbranch_execz .LBB0_13
; %bb.12:
	v_add_f64_e32 v[36:37], v[24:25], v[36:37]
	v_add_f64_e32 v[38:39], v[26:27], v[38:39]
	scratch_load_b64 v[217:218], off, off offset:148 th:TH_LOAD_LU ; 8-byte Folded Reload
	v_add_f64_e32 v[36:37], v[36:37], v[40:41]
	v_add_f64_e32 v[38:39], v[38:39], v[42:43]
	v_mul_f64_e32 v[40:41], s[24:25], v[182:183]
	v_mul_f64_e32 v[42:43], s[22:23], v[176:177]
	s_delay_alu instid0(VALU_DEP_4) | instskip(NEXT) | instid1(VALU_DEP_4)
	v_add_f64_e32 v[36:37], v[36:37], v[48:49]
	v_add_f64_e32 v[38:39], v[38:39], v[50:51]
	s_delay_alu instid0(VALU_DEP_4)
	v_add_f64_e64 v[40:41], v[212:213], -v[40:41]
	scratch_load_b64 v[212:213], off, off offset:140 th:TH_LOAD_LU ; 8-byte Folded Reload
	v_mul_f64_e32 v[48:49], s[14:15], v[182:183]
	v_mul_f64_e32 v[50:51], s[12:13], v[176:177]
	v_add_f64_e32 v[42:43], v[42:43], v[210:211]
	scratch_load_b64 v[210:211], off, off offset:196 th:TH_LOAD_LU ; 8-byte Folded Reload
	v_add_f64_e32 v[36:37], v[36:37], v[56:57]
	v_add_f64_e32 v[38:39], v[38:39], v[58:59]
	scratch_load_b64 v[58:59], off, off offset:132 th:TH_LOAD_LU ; 8-byte Folded Reload
	v_mul_f64_e32 v[56:57], s[16:17], v[182:183]
	v_add_f64_e64 v[48:49], v[204:205], -v[48:49]
	v_add_f64_e32 v[50:51], v[50:51], v[202:203]
	v_mul_f64_e32 v[202:203], s[24:25], v[162:163]
	v_mul_f64_e32 v[204:205], s[24:25], v[174:175]
	v_add_f64_e32 v[36:37], v[36:37], v[60:61]
	v_add_f64_e32 v[38:39], v[38:39], v[62:63]
	v_mul_f64_e32 v[60:61], s[34:35], v[180:181]
	v_mul_f64_e32 v[62:63], s[28:29], v[180:181]
	s_delay_alu instid0(VALU_DEP_4) | instskip(NEXT) | instid1(VALU_DEP_4)
	v_add_f64_e32 v[36:37], v[36:37], v[68:69]
	v_add_f64_e32 v[38:39], v[38:39], v[70:71]
	v_mul_f64_e32 v[70:71], s[10:11], v[176:177]
	s_delay_alu instid0(VALU_DEP_4)
	v_fma_f64 v[68:69], v[176:177], s[26:27], -v[62:63]
	v_fma_f64 v[62:63], v[176:177], s[26:27], v[62:63]
	v_add_f64_e32 v[36:37], v[36:37], v[76:77]
	v_add_f64_e32 v[38:39], v[38:39], v[78:79]
	;; [unrolled: 1-line block ×6, first 2 shown]
	v_mul_f64_e32 v[48:49], s[34:35], v[104:105]
	v_add_f64_e32 v[36:37], v[36:37], v[84:85]
	v_add_f64_e32 v[38:39], v[38:39], v[86:87]
	s_delay_alu instid0(VALU_DEP_2) | instskip(NEXT) | instid1(VALU_DEP_2)
	v_add_f64_e32 v[36:37], v[36:37], v[80:81]
	v_add_f64_e32 v[38:39], v[38:39], v[82:83]
	;; [unrolled: 1-line block ×4, first 2 shown]
	v_fma_f64 v[50:51], v[110:111], s[30:31], v[48:49]
	v_add_f64_e32 v[36:37], v[36:37], v[72:73]
	scratch_load_b64 v[72:73], off, off offset:124 th:TH_LOAD_LU ; 8-byte Folded Reload
	v_add_f64_e32 v[38:39], v[38:39], v[74:75]
	v_add_f64_e32 v[36:37], v[36:37], v[64:65]
	s_delay_alu instid0(VALU_DEP_2) | instskip(SKIP_2) | instid1(VALU_DEP_4)
	v_add_f64_e32 v[38:39], v[38:39], v[66:67]
	v_fma_f64 v[66:67], v[176:177], s[30:31], -v[60:61]
	v_fma_f64 v[60:61], v[176:177], s[30:31], v[60:61]
	v_add_f64_e32 v[36:37], v[36:37], v[52:53]
	v_mul_f64_e32 v[52:53], s[6:7], v[182:183]
	v_add_f64_e32 v[38:39], v[38:39], v[54:55]
	v_mul_f64_e32 v[54:55], s[2:3], v[176:177]
	v_add_f64_e32 v[66:67], v[24:25], v[66:67]
	v_add_f64_e32 v[60:61], v[24:25], v[60:61]
	s_wait_loadcnt 0x1
	v_add_f64_e64 v[56:57], v[58:59], -v[56:57]
	v_mul_f64_e32 v[58:59], s[38:39], v[180:181]
	v_add_f64_e32 v[36:37], v[36:37], v[44:45]
	v_mul_f64_e32 v[44:45], s[20:21], v[182:183]
	v_add_f64_e32 v[38:39], v[38:39], v[46:47]
	;; [unrolled: 2-line block ×3, first 2 shown]
	v_add_f64_e64 v[52:53], v[200:201], -v[52:53]
	v_mul_f64_e32 v[198:199], s[50:51], v[174:175]
	v_mul_f64_e32 v[200:201], s[46:47], v[170:171]
	v_add_f64_e32 v[82:83], v[26:27], v[56:57]
	v_fma_f64 v[64:65], v[176:177], s[36:37], -v[58:59]
	v_fma_f64 v[58:59], v[176:177], s[36:37], v[58:59]
	v_add_f64_e32 v[32:33], v[36:37], v[32:33]
	v_mul_f64_e32 v[36:37], s[28:29], v[182:183]
	v_add_f64_e32 v[34:35], v[38:39], v[34:35]
	v_add_f64_e32 v[46:47], v[46:47], v[206:207]
	v_add_f64_e64 v[44:45], v[208:209], -v[44:45]
	v_mul_f64_e32 v[208:209], s[30:31], v[124:125]
	scratch_load_b64 v[206:207], off, off offset:164 th:TH_LOAD_LU ; 8-byte Folded Reload
	v_add_f64_e32 v[64:65], v[24:25], v[64:65]
	v_add_f64_e32 v[58:59], v[24:25], v[58:59]
	;; [unrolled: 1-line block ×3, first 2 shown]
	v_mul_f64_e32 v[32:33], s[34:35], v[182:183]
	v_add_f64_e32 v[30:31], v[34:35], v[30:31]
	v_fma_f64 v[38:39], v[186:187], s[26:27], v[36:37]
	v_add_f64_e32 v[46:47], v[24:25], v[46:47]
	v_fma_f64 v[36:37], v[186:187], s[26:27], -v[36:37]
	v_add_f64_e32 v[44:45], v[26:27], v[44:45]
	v_add_f64_e32 v[208:209], v[208:209], v[210:211]
	v_mul_f64_e32 v[210:211], s[18:19], v[92:93]
	v_add_f64_e32 v[20:21], v[28:29], v[20:21]
	v_mul_f64_e32 v[28:29], s[38:39], v[182:183]
	v_fma_f64 v[34:35], v[186:187], s[30:31], v[32:33]
	v_fma_f64 v[32:33], v[186:187], s[30:31], -v[32:33]
	v_add_f64_e32 v[22:23], v[30:31], v[22:23]
	v_add_f64_e32 v[74:75], v[26:27], v[38:39]
	v_add_f64_e32 v[38:39], v[24:25], v[54:55]
	v_add_f64_e32 v[76:77], v[26:27], v[36:37]
	v_add_f64_e32 v[36:37], v[26:27], v[52:53]
	v_add_f64_e32 v[210:211], v[210:211], v[212:213]
	v_mul_f64_e32 v[212:213], s[26:27], v[100:101]
	v_fma_f64 v[30:31], v[186:187], s[36:37], v[28:29]
	v_fma_f64 v[28:29], v[186:187], s[36:37], -v[28:29]
	v_add_f64_e32 v[34:35], v[26:27], v[34:35]
	v_mul_f64_e32 v[186:187], s[50:51], v[162:163]
	v_add_f64_e32 v[38:39], v[210:211], v[38:39]
	scratch_load_b64 v[210:211], off, off offset:156 th:TH_LOAD_LU ; 8-byte Folded Reload
	v_add_f64_e32 v[212:213], v[212:213], v[217:218]
	v_add_f64_e32 v[30:31], v[26:27], v[30:31]
	;; [unrolled: 1-line block ×3, first 2 shown]
	s_delay_alu instid0(VALU_DEP_3) | instskip(SKIP_4) | instid1(VALU_DEP_3)
	v_add_f64_e32 v[38:39], v[212:213], v[38:39]
	s_wait_loadcnt 0x2
	v_add_f64_e32 v[70:71], v[70:71], v[72:73]
	v_add_f64_e32 v[72:73], v[26:27], v[32:33]
	v_mul_f64_e32 v[32:33], s[48:49], v[96:97]
	v_add_f64_e32 v[70:71], v[24:25], v[70:71]
	s_delay_alu instid0(VALU_DEP_2) | instskip(SKIP_1) | instid1(VALU_DEP_2)
	v_fma_f64 v[24:25], v[108:109], s[10:11], v[32:33]
	v_fma_f64 v[32:33], v[108:109], s[10:11], -v[32:33]
	v_add_f64_e32 v[24:25], v[24:25], v[30:31]
	v_mul_f64_e32 v[30:31], s[48:49], v[120:121]
	s_delay_alu instid0(VALU_DEP_3)
	v_add_f64_e32 v[28:29], v[32:33], v[28:29]
	v_fma_f64 v[32:33], v[110:111], s[30:31], -v[48:49]
	v_fma_f64 v[48:49], v[158:159], s[18:19], v[198:199]
	v_add_f64_e32 v[24:25], v[50:51], v[24:25]
	v_fma_f64 v[26:27], v[92:93], s[10:11], -v[30:31]
	v_mul_f64_e32 v[50:51], s[34:35], v[122:123]
	v_fma_f64 v[30:31], v[92:93], s[10:11], v[30:31]
	v_add_f64_e32 v[28:29], v[32:33], v[28:29]
	s_delay_alu instid0(VALU_DEP_4) | instskip(NEXT) | instid1(VALU_DEP_4)
	v_add_f64_e32 v[26:27], v[26:27], v[64:65]
	v_fma_f64 v[52:53], v[100:101], s[30:31], -v[50:51]
	s_delay_alu instid0(VALU_DEP_4)
	v_add_f64_e32 v[30:31], v[30:31], v[58:59]
	v_fma_f64 v[32:33], v[100:101], s[30:31], v[50:51]
	v_mul_f64_e32 v[58:59], s[42:43], v[120:121]
	v_mul_f64_e32 v[50:51], s[40:41], v[130:131]
	v_add_f64_e32 v[26:27], v[52:53], v[26:27]
	v_mul_f64_e32 v[52:53], s[46:47], v[116:117]
	v_add_f64_e32 v[30:31], v[32:33], v[30:31]
	s_delay_alu instid0(VALU_DEP_4) | instskip(NEXT) | instid1(VALU_DEP_3)
	v_add_f64_e64 v[50:51], v[234:235], -v[50:51]
	v_fma_f64 v[54:55], v[128:129], s[2:3], v[52:53]
	v_fma_f64 v[32:33], v[128:129], s[2:3], -v[52:53]
	v_mul_f64_e32 v[52:53], s[38:39], v[116:117]
	s_delay_alu instid0(VALU_DEP_3) | instskip(SKIP_1) | instid1(VALU_DEP_4)
	v_add_f64_e32 v[24:25], v[54:55], v[24:25]
	v_mul_f64_e32 v[54:55], s[46:47], v[136:137]
	v_add_f64_e32 v[28:29], v[32:33], v[28:29]
	s_delay_alu instid0(VALU_DEP_2)
	v_fma_f64 v[56:57], v[112:113], s[2:3], -v[54:55]
	v_fma_f64 v[32:33], v[112:113], s[2:3], v[54:55]
	scratch_load_b64 v[54:55], off, off offset:244 th:TH_LOAD_LU ; 8-byte Folded Reload
	v_add_f64_e32 v[26:27], v[56:57], v[26:27]
	v_mul_f64_e32 v[56:57], s[28:29], v[130:131]
	v_add_f64_e32 v[30:31], v[32:33], v[30:31]
	s_delay_alu instid0(VALU_DEP_2) | instskip(SKIP_2) | instid1(VALU_DEP_3)
	v_fma_f64 v[64:65], v[134:135], s[26:27], v[56:57]
	v_fma_f64 v[32:33], v[134:135], s[26:27], -v[56:57]
	v_mul_f64_e32 v[56:57], s[42:43], v[96:97]
	v_add_f64_e32 v[24:25], v[64:65], v[24:25]
	v_mul_f64_e32 v[64:65], s[28:29], v[142:143]
	s_delay_alu instid0(VALU_DEP_4) | instskip(NEXT) | instid1(VALU_DEP_2)
	v_add_f64_e32 v[28:29], v[32:33], v[28:29]
	v_fma_f64 v[84:85], v[124:125], s[26:27], -v[64:65]
	v_fma_f64 v[32:33], v[124:125], s[26:27], v[64:65]
	v_mul_f64_e32 v[64:65], s[20:21], v[104:105]
	s_delay_alu instid0(VALU_DEP_3) | instskip(SKIP_1) | instid1(VALU_DEP_4)
	v_add_f64_e32 v[26:27], v[84:85], v[26:27]
	v_mul_f64_e32 v[84:85], s[42:43], v[144:145]
	v_add_f64_e32 v[30:31], v[32:33], v[30:31]
	s_delay_alu instid0(VALU_DEP_2) | instskip(SKIP_2) | instid1(VALU_DEP_3)
	v_fma_f64 v[86:87], v[156:157], s[12:13], v[84:85]
	v_fma_f64 v[32:33], v[156:157], s[12:13], -v[84:85]
	v_mul_f64_e32 v[84:85], s[54:55], v[116:117]
	v_add_f64_e32 v[24:25], v[86:87], v[24:25]
	v_mul_f64_e32 v[86:87], s[42:43], v[168:169]
	s_delay_alu instid0(VALU_DEP_4) | instskip(NEXT) | instid1(VALU_DEP_2)
	v_add_f64_e32 v[28:29], v[32:33], v[28:29]
	v_fma_f64 v[176:177], v[138:139], s[12:13], -v[86:87]
	v_fma_f64 v[32:33], v[138:139], s[12:13], v[86:87]
	v_mul_f64_e32 v[86:87], s[54:55], v[136:137]
	s_wait_loadcnt 0x0
	v_add_f64_e64 v[52:53], v[54:55], -v[52:53]
	v_mul_f64_e32 v[54:55], s[28:29], v[104:105]
	v_add_f64_e32 v[26:27], v[176:177], v[26:27]
	v_mul_f64_e32 v[176:177], s[24:25], v[152:153]
	v_add_f64_e32 v[30:31], v[32:33], v[30:31]
	s_delay_alu instid0(VALU_DEP_2) | instskip(SKIP_2) | instid1(VALU_DEP_3)
	v_fma_f64 v[180:181], v[166:167], s[22:23], v[176:177]
	v_fma_f64 v[32:33], v[166:167], s[22:23], -v[176:177]
	v_mul_f64_e32 v[176:177], s[16:17], v[130:131]
	v_add_f64_e32 v[24:25], v[180:181], v[24:25]
	v_mul_f64_e32 v[180:181], s[24:25], v[170:171]
	s_delay_alu instid0(VALU_DEP_4) | instskip(NEXT) | instid1(VALU_DEP_2)
	v_add_f64_e32 v[28:29], v[32:33], v[28:29]
	v_fma_f64 v[32:33], v[148:149], s[22:23], v[180:181]
	v_fma_f64 v[182:183], v[148:149], s[22:23], -v[180:181]
	v_mul_f64_e32 v[180:181], s[16:17], v[142:143]
	s_delay_alu instid0(VALU_DEP_3) | instskip(SKIP_1) | instid1(VALU_DEP_4)
	v_add_f64_e32 v[32:33], v[32:33], v[30:31]
	v_fma_f64 v[30:31], v[172:173], s[18:19], -v[186:187]
	v_add_f64_e32 v[182:183], v[182:183], v[26:27]
	v_fma_f64 v[26:27], v[172:173], s[18:19], v[186:187]
	v_mul_f64_e32 v[186:187], s[38:39], v[168:169]
	s_delay_alu instid0(VALU_DEP_4)
	v_add_f64_e32 v[30:31], v[30:31], v[28:29]
	v_add_f64_e32 v[28:29], v[48:49], v[32:33]
	v_fma_f64 v[32:33], v[108:109], s[12:13], v[56:57]
	v_fma_f64 v[48:49], v[110:111], s[18:19], v[64:65]
	v_add_f64_e32 v[26:27], v[26:27], v[24:25]
	v_fma_f64 v[24:25], v[158:159], s[18:19], -v[198:199]
	v_mul_f64_e32 v[198:199], s[46:47], v[152:153]
	v_fma_f64 v[56:57], v[108:109], s[12:13], -v[56:57]
	v_add_f64_e32 v[32:33], v[32:33], v[34:35]
	v_fma_f64 v[34:35], v[92:93], s[12:13], -v[58:59]
	v_fma_f64 v[58:59], v[92:93], s[12:13], v[58:59]
	v_add_f64_e32 v[24:25], v[24:25], v[182:183]
	v_mul_f64_e32 v[182:183], s[38:39], v[144:145]
	v_add_f64_e32 v[56:57], v[56:57], v[72:73]
	v_add_f64_e32 v[32:33], v[48:49], v[32:33]
	;; [unrolled: 1-line block ×3, first 2 shown]
	v_mul_f64_e32 v[66:67], s[20:21], v[122:123]
	v_add_f64_e32 v[58:59], v[58:59], v[60:61]
	v_fma_f64 v[60:61], v[110:111], s[18:19], -v[64:65]
	v_fma_f64 v[64:65], v[158:159], s[22:23], v[204:205]
	s_delay_alu instid0(VALU_DEP_4) | instskip(NEXT) | instid1(VALU_DEP_3)
	v_fma_f64 v[48:49], v[100:101], s[18:19], -v[66:67]
	v_add_f64_e32 v[56:57], v[60:61], v[56:57]
	v_fma_f64 v[60:61], v[100:101], s[18:19], v[66:67]
	s_delay_alu instid0(VALU_DEP_3) | instskip(SKIP_1) | instid1(VALU_DEP_3)
	v_add_f64_e32 v[34:35], v[48:49], v[34:35]
	v_fma_f64 v[48:49], v[128:129], s[26:27], v[84:85]
	v_add_f64_e32 v[58:59], v[60:61], v[58:59]
	v_fma_f64 v[60:61], v[128:129], s[26:27], -v[84:85]
	s_delay_alu instid0(VALU_DEP_3) | instskip(SKIP_1) | instid1(VALU_DEP_3)
	v_add_f64_e32 v[32:33], v[48:49], v[32:33]
	v_fma_f64 v[48:49], v[112:113], s[26:27], -v[86:87]
	v_add_f64_e32 v[56:57], v[60:61], v[56:57]
	v_fma_f64 v[60:61], v[112:113], s[26:27], v[86:87]
	scratch_load_b64 v[86:87], off, off offset:44 th:TH_LOAD_LU ; 8-byte Folded Reload
	v_add_f64_e32 v[34:35], v[48:49], v[34:35]
	v_fma_f64 v[48:49], v[134:135], s[10:11], v[176:177]
	v_add_f64_e32 v[58:59], v[60:61], v[58:59]
	v_fma_f64 v[60:61], v[134:135], s[10:11], -v[176:177]
	s_delay_alu instid0(VALU_DEP_3) | instskip(SKIP_1) | instid1(VALU_DEP_3)
	v_add_f64_e32 v[32:33], v[48:49], v[32:33]
	v_fma_f64 v[48:49], v[124:125], s[10:11], -v[180:181]
	v_add_f64_e32 v[56:57], v[60:61], v[56:57]
	v_fma_f64 v[60:61], v[124:125], s[10:11], v[180:181]
	s_delay_alu instid0(VALU_DEP_3) | instskip(SKIP_1) | instid1(VALU_DEP_3)
	v_add_f64_e32 v[34:35], v[48:49], v[34:35]
	v_fma_f64 v[48:49], v[156:157], s[36:37], v[182:183]
	v_add_f64_e32 v[58:59], v[60:61], v[58:59]
	v_fma_f64 v[60:61], v[156:157], s[36:37], -v[182:183]
	s_delay_alu instid0(VALU_DEP_3) | instskip(SKIP_1) | instid1(VALU_DEP_3)
	v_add_f64_e32 v[32:33], v[48:49], v[32:33]
	v_fma_f64 v[48:49], v[138:139], s[36:37], -v[186:187]
	v_add_f64_e32 v[56:57], v[60:61], v[56:57]
	v_fma_f64 v[60:61], v[138:139], s[36:37], v[186:187]
	s_delay_alu instid0(VALU_DEP_3) | instskip(SKIP_1) | instid1(VALU_DEP_3)
	;; [unrolled: 10-line block ×3, first 2 shown]
	v_add_f64_e32 v[48:49], v[48:49], v[34:35]
	v_fma_f64 v[34:35], v[172:173], s[22:23], v[202:203]
	v_add_f64_e32 v[60:61], v[60:61], v[58:59]
	v_fma_f64 v[58:59], v[172:173], s[22:23], -v[202:203]
	s_delay_alu instid0(VALU_DEP_3) | instskip(SKIP_1) | instid1(VALU_DEP_3)
	v_add_f64_e32 v[34:35], v[34:35], v[32:33]
	v_fma_f64 v[32:33], v[158:159], s[22:23], -v[204:205]
	v_add_f64_e32 v[58:59], v[58:59], v[56:57]
	v_add_f64_e32 v[56:57], v[64:65], v[60:61]
	s_delay_alu instid0(VALU_DEP_3) | instskip(SKIP_1) | instid1(VALU_DEP_1)
	v_add_f64_e32 v[32:33], v[32:33], v[48:49]
	v_mul_f64_e32 v[48:49], s[44:45], v[144:145]
	v_add_f64_e64 v[48:49], v[94:95], -v[48:49]
	scratch_load_b64 v[94:95], off, off offset:180 th:TH_LOAD_LU ; 8-byte Folded Reload
	s_wait_loadcnt 0x0
	v_add_f64_e64 v[54:55], v[94:95], -v[54:55]
	v_mul_f64_e32 v[94:95], s[20:21], v[96:97]
	s_delay_alu instid0(VALU_DEP_1) | instskip(SKIP_1) | instid1(VALU_DEP_2)
	v_add_f64_e64 v[94:95], v[206:207], -v[94:95]
	v_mul_f64_e32 v[206:207], s[22:23], v[138:139]
	v_add_f64_e32 v[36:37], v[94:95], v[36:37]
	v_mul_f64_e32 v[94:95], s[36:37], v[112:113]
	s_delay_alu instid0(VALU_DEP_3) | instskip(NEXT) | instid1(VALU_DEP_3)
	v_add_f64_e32 v[206:207], v[206:207], v[226:227]
	v_add_f64_e32 v[36:37], v[54:55], v[36:37]
	s_delay_alu instid0(VALU_DEP_3)
	v_add_f64_e32 v[94:95], v[94:95], v[210:211]
	scratch_load_b64 v[210:211], off, off offset:252 th:TH_LOAD_LU ; 8-byte Folded Reload
	v_mul_f64_e32 v[54:55], s[42:43], v[152:153]
	v_add_f64_e32 v[36:37], v[52:53], v[36:37]
	v_add_f64_e32 v[38:39], v[94:95], v[38:39]
	scratch_load_b64 v[94:95], off, off offset:204 th:TH_LOAD_LU ; 8-byte Folded Reload
	v_mul_f64_e32 v[52:53], s[12:13], v[148:149]
	v_add_f64_e32 v[36:37], v[50:51], v[36:37]
	;; [unrolled: 4-line block ×3, first 2 shown]
	v_add_f64_e32 v[38:39], v[206:207], v[38:39]
	scratch_load_b64 v[206:207], off, off offset:172 th:TH_LOAD_LU ; 8-byte Folded Reload
	v_add_f64_e64 v[50:51], v[220:221], -v[50:51]
	v_mul_f64_e32 v[48:49], s[10:11], v[158:159]
	s_wait_loadcnt 0x3
	v_add_f64_e64 v[54:55], v[210:211], -v[54:55]
	s_wait_loadcnt 0x2
	v_add_f64_e32 v[52:53], v[52:53], v[94:95]
	scratch_load_b64 v[94:95], off, off offset:212 th:TH_LOAD_LU ; 8-byte Folded Reload
	v_add_f64_e32 v[36:37], v[54:55], v[36:37]
	v_mul_f64_e32 v[54:55], s[52:53], v[104:105]
	v_add_f64_e32 v[52:53], v[52:53], v[38:39]
	s_delay_alu instid0(VALU_DEP_3) | instskip(SKIP_1) | instid1(VALU_DEP_4)
	v_add_f64_e32 v[38:39], v[50:51], v[36:37]
	v_mul_f64_e32 v[50:51], s[46:47], v[130:131]
	v_add_f64_e64 v[54:55], v[230:231], -v[54:55]
	s_delay_alu instid0(VALU_DEP_2) | instskip(SKIP_4) | instid1(VALU_DEP_2)
	v_add_f64_e64 v[50:51], v[140:141], -v[50:51]
	scratch_load_b64 v[140:141], off, off offset:236 th:TH_LOAD_LU ; 8-byte Folded Reload
	s_wait_loadcnt 0x1
	v_add_f64_e32 v[48:49], v[48:49], v[94:95]
	v_mul_f64_e32 v[94:95], s[28:29], v[96:97]
	v_add_f64_e32 v[36:37], v[48:49], v[52:53]
	v_mul_f64_e32 v[48:49], s[16:17], v[144:145]
	v_mul_f64_e32 v[52:53], s[44:45], v[116:117]
	s_delay_alu instid0(VALU_DEP_2)
	v_add_f64_e64 v[48:49], v[184:185], -v[48:49]
	v_mul_f64_e32 v[184:185], s[26:27], v[92:93]
	s_wait_loadcnt 0x0
	v_add_f64_e64 v[94:95], v[140:141], -v[94:95]
	v_mul_f64_e32 v[140:141], s[10:11], v[138:139]
	v_add_f64_e64 v[52:53], v[246:247], -v[52:53]
	s_delay_alu instid0(VALU_DEP_4)
	v_add_f64_e32 v[184:185], v[184:185], v[206:207]
	v_mul_f64_e32 v[206:207], s[36:37], v[100:101]
	v_add_f64_e32 v[40:41], v[94:95], v[40:41]
	v_mul_f64_e32 v[94:95], s[22:23], v[112:113]
	;; [unrolled: 2-line block ×3, first 2 shown]
	v_add_f64_e32 v[42:43], v[184:185], v[42:43]
	scratch_load_b64 v[184:185], off, off offset:228 th:TH_LOAD_LU ; 8-byte Folded Reload
	v_add_f64_e32 v[206:207], v[206:207], v[208:209]
	v_add_f64_e32 v[40:41], v[54:55], v[40:41]
	v_mul_f64_e32 v[54:55], s[20:21], v[152:153]
	v_add_f64_e32 v[140:141], v[140:141], v[240:241]
	s_delay_alu instid0(VALU_DEP_4) | instskip(NEXT) | instid1(VALU_DEP_4)
	v_add_f64_e32 v[42:43], v[206:207], v[42:43]
	v_add_f64_e32 v[40:41], v[52:53], v[40:41]
	v_mul_f64_e32 v[52:53], s[18:19], v[148:149]
	v_add_f64_e64 v[54:55], v[248:249], -v[54:55]
	s_delay_alu instid0(VALU_DEP_3) | instskip(NEXT) | instid1(VALU_DEP_3)
	v_add_f64_e32 v[40:41], v[50:51], v[40:41]
	v_add_f64_e32 v[52:53], v[52:53], v[236:237]
	v_mul_f64_e32 v[50:51], s[34:35], v[162:163]
	s_delay_alu instid0(VALU_DEP_3) | instskip(SKIP_1) | instid1(VALU_DEP_3)
	v_add_f64_e32 v[40:41], v[48:49], v[40:41]
	v_mul_f64_e32 v[48:49], s[30:31], v[158:159]
	v_add_f64_e64 v[50:51], v[244:245], -v[50:51]
	s_delay_alu instid0(VALU_DEP_3) | instskip(NEXT) | instid1(VALU_DEP_3)
	v_add_f64_e32 v[40:41], v[54:55], v[40:41]
	v_add_f64_e32 v[48:49], v[48:49], v[228:229]
	v_mul_f64_e32 v[54:55], s[44:45], v[104:105]
	s_delay_alu instid0(VALU_DEP_1) | instskip(SKIP_2) | instid1(VALU_DEP_1)
	v_add_f64_e64 v[54:55], v[252:253], -v[54:55]
	s_wait_loadcnt 0x0
	v_add_f64_e32 v[94:95], v[94:95], v[184:185]
	v_add_f64_e32 v[42:43], v[94:95], v[42:43]
	v_mul_f64_e32 v[94:95], s[38:39], v[96:97]
	s_delay_alu instid0(VALU_DEP_2) | instskip(SKIP_4) | instid1(VALU_DEP_3)
	v_add_f64_e32 v[42:43], v[140:141], v[42:43]
	scratch_load_b64 v[140:141], off, off offset:220 th:TH_LOAD_LU ; 8-byte Folded Reload
	v_add_f64_e64 v[94:95], v[232:233], -v[94:95]
	v_add_f64_e32 v[42:43], v[102:103], v[42:43]
	v_mul_f64_e32 v[102:103], s[30:31], v[138:139]
	v_add_f64_e32 v[44:45], v[94:95], v[44:45]
	v_mul_f64_e32 v[94:95], s[10:11], v[112:113]
	s_delay_alu instid0(VALU_DEP_4) | instskip(NEXT) | instid1(VALU_DEP_4)
	v_add_f64_e32 v[52:53], v[52:53], v[42:43]
	v_add_f64_e32 v[102:103], v[102:103], v[150:151]
	scratch_load_b64 v[150:151], off, off offset:260 th:TH_LOAD_LU ; 8-byte Folded Reload
	v_add_f64_e32 v[42:43], v[50:51], v[40:41]
	v_mul_f64_e32 v[50:51], s[14:15], v[130:131]
	v_add_f64_e32 v[94:95], v[94:95], v[224:225]
	v_add_f64_e32 v[44:45], v[54:55], v[44:45]
	v_mul_f64_e32 v[54:55], s[54:55], v[152:153]
	v_add_f64_e32 v[40:41], v[48:49], v[52:53]
	v_mul_f64_e32 v[52:53], s[48:49], v[116:117]
	v_mul_f64_e32 v[48:49], s[34:35], v[144:145]
	v_add_f64_e64 v[50:51], v[160:161], -v[50:51]
	v_add_f64_e64 v[54:55], v[118:119], -v[54:55]
	s_delay_alu instid0(VALU_DEP_4) | instskip(SKIP_2) | instid1(VALU_DEP_3)
	v_add_f64_e64 v[52:53], v[114:115], -v[52:53]
	v_mul_f64_e32 v[114:115], s[12:13], v[124:125]
	v_add_f64_e64 v[48:49], v[192:193], -v[48:49]
	v_add_f64_e32 v[44:45], v[52:53], v[44:45]
	s_delay_alu instid0(VALU_DEP_3) | instskip(SKIP_2) | instid1(VALU_DEP_4)
	v_add_f64_e32 v[98:99], v[114:115], v[98:99]
	v_mul_f64_e32 v[114:115], s[36:37], v[92:93]
	v_mul_f64_e32 v[52:53], s[26:27], v[148:149]
	v_add_f64_e32 v[44:45], v[50:51], v[44:45]
	v_mul_f64_e32 v[50:51], s[46:47], v[162:163]
	s_delay_alu instid0(VALU_DEP_3) | instskip(SKIP_1) | instid1(VALU_DEP_4)
	v_add_f64_e32 v[52:53], v[52:53], v[89:90]
	v_mul_f64_e32 v[89:90], s[40:41], v[96:97]
	v_add_f64_e32 v[44:45], v[48:49], v[44:45]
	v_mul_f64_e32 v[48:49], s[2:3], v[158:159]
	v_add_f64_e64 v[50:51], v[106:107], -v[50:51]
	v_mul_f64_e32 v[106:107], s[2:3], v[100:101]
	v_add_f64_e64 v[89:90], v[254:255], -v[89:90]
	v_add_f64_e32 v[44:45], v[54:55], v[44:45]
	v_add_f64_e32 v[48:49], v[48:49], v[250:251]
	v_mul_f64_e32 v[54:55], s[46:47], v[104:105]
	v_add_f64_e32 v[106:107], v[106:107], v[238:239]
	v_add_f64_e32 v[78:79], v[89:90], v[78:79]
	v_mul_f64_e32 v[89:90], s[12:13], v[112:113]
	s_wait_loadcnt 0x1
	v_add_f64_e32 v[114:115], v[114:115], v[140:141]
	v_mul_f64_e32 v[140:141], s[22:23], v[100:101]
	v_add_f64_e64 v[54:55], v[132:133], -v[54:55]
	v_mul_f64_e32 v[132:133], s[42:43], v[162:163]
	v_add_f64_e32 v[89:90], v[89:90], v[242:243]
	v_add_f64_e32 v[46:47], v[114:115], v[46:47]
	s_delay_alu instid0(VALU_DEP_4) | instskip(NEXT) | instid1(VALU_DEP_4)
	v_add_f64_e32 v[54:55], v[54:55], v[78:79]
	v_fma_f64 v[84:85], v[172:173], s[12:13], v[132:133]
	s_wait_loadcnt 0x0
	v_add_f64_e32 v[140:141], v[140:141], v[150:151]
	s_delay_alu instid0(VALU_DEP_1) | instskip(NEXT) | instid1(VALU_DEP_1)
	v_add_f64_e32 v[46:47], v[140:141], v[46:47]
	v_add_f64_e32 v[46:47], v[94:95], v[46:47]
	v_mul_f64_e32 v[94:95], s[18:19], v[138:139]
	s_delay_alu instid0(VALU_DEP_2) | instskip(SKIP_1) | instid1(VALU_DEP_3)
	v_add_f64_e32 v[46:47], v[98:99], v[46:47]
	v_mul_f64_e32 v[98:99], s[36:37], v[124:125]
	v_add_f64_e32 v[94:95], v[94:95], v[190:191]
	s_delay_alu instid0(VALU_DEP_3) | instskip(SKIP_1) | instid1(VALU_DEP_4)
	v_add_f64_e32 v[46:47], v[102:103], v[46:47]
	v_mul_f64_e32 v[102:103], s[30:31], v[92:93]
	v_add_f64_e32 v[98:99], v[98:99], v[154:155]
	s_delay_alu instid0(VALU_DEP_3) | instskip(NEXT) | instid1(VALU_DEP_3)
	v_add_f64_e32 v[52:53], v[52:53], v[46:47]
	v_add_f64_e32 v[102:103], v[102:103], v[222:223]
	;; [unrolled: 1-line block ×3, first 2 shown]
	v_mul_f64_e32 v[50:51], s[38:39], v[130:131]
	s_delay_alu instid0(VALU_DEP_4) | instskip(SKIP_4) | instid1(VALU_DEP_4)
	v_add_f64_e32 v[44:45], v[48:49], v[52:53]
	v_mul_f64_e32 v[52:53], s[14:15], v[116:117]
	v_add_f64_e32 v[80:81], v[102:103], v[80:81]
	v_mul_f64_e32 v[48:49], s[50:51], v[144:145]
	v_add_f64_e64 v[50:51], v[194:195], -v[50:51]
	v_add_f64_e64 v[52:53], v[178:179], -v[52:53]
	s_delay_alu instid0(VALU_DEP_4) | instskip(NEXT) | instid1(VALU_DEP_4)
	v_add_f64_e32 v[78:79], v[106:107], v[80:81]
	v_add_f64_e64 v[48:49], v[196:197], -v[48:49]
	v_mul_f64_e32 v[80:81], s[16:17], v[152:153]
	s_delay_alu instid0(VALU_DEP_4) | instskip(NEXT) | instid1(VALU_DEP_4)
	v_add_f64_e32 v[52:53], v[52:53], v[54:55]
	v_add_f64_e32 v[54:55], v[89:90], v[78:79]
	v_mul_f64_e32 v[78:79], s[10:11], v[148:149]
	s_delay_alu instid0(VALU_DEP_4) | instskip(NEXT) | instid1(VALU_DEP_4)
	v_add_f64_e64 v[80:81], v[188:189], -v[80:81]
	v_add_f64_e32 v[50:51], v[50:51], v[52:53]
	s_delay_alu instid0(VALU_DEP_4) | instskip(NEXT) | instid1(VALU_DEP_4)
	v_add_f64_e32 v[52:53], v[98:99], v[54:55]
	v_add_f64_e32 v[78:79], v[78:79], v[146:147]
	v_mul_f64_e32 v[54:55], s[28:29], v[162:163]
	s_delay_alu instid0(VALU_DEP_4) | instskip(NEXT) | instid1(VALU_DEP_4)
	v_add_f64_e32 v[48:49], v[48:49], v[50:51]
	v_add_f64_e32 v[50:51], v[94:95], v[52:53]
	v_mul_f64_e32 v[52:53], s[26:27], v[158:159]
	s_delay_alu instid0(VALU_DEP_4) | instskip(NEXT) | instid1(VALU_DEP_4)
	v_add_f64_e64 v[54:55], v[164:165], -v[54:55]
	v_add_f64_e32 v[48:49], v[80:81], v[48:49]
	s_delay_alu instid0(VALU_DEP_4) | instskip(NEXT) | instid1(VALU_DEP_4)
	v_add_f64_e32 v[78:79], v[78:79], v[50:51]
	v_add_f64_e32 v[52:53], v[52:53], v[126:127]
	v_mul_f64_e32 v[126:127], s[42:43], v[174:175]
	s_delay_alu instid0(VALU_DEP_4) | instskip(NEXT) | instid1(VALU_DEP_3)
	v_add_f64_e32 v[50:51], v[54:55], v[48:49]
	v_add_f64_e32 v[48:49], v[52:53], v[78:79]
	v_mul_f64_e32 v[78:79], s[44:45], v[96:97]
	s_delay_alu instid0(VALU_DEP_1) | instskip(SKIP_1) | instid1(VALU_DEP_2)
	v_fma_f64 v[52:53], v[108:109], s[22:23], -v[78:79]
	v_fma_f64 v[60:61], v[108:109], s[22:23], v[78:79]
	v_add_f64_e32 v[52:53], v[52:53], v[76:77]
	v_mul_f64_e32 v[76:77], s[44:45], v[120:121]
	s_delay_alu instid0(VALU_DEP_3) | instskip(NEXT) | instid1(VALU_DEP_2)
	v_add_f64_e32 v[60:61], v[60:61], v[74:75]
	v_fma_f64 v[54:55], v[92:93], s[22:23], v[76:77]
	v_fma_f64 v[74:75], v[92:93], s[22:23], -v[76:77]
	scratch_load_b64 v[76:77], off, off offset:20 th:TH_LOAD_LU ; 8-byte Folded Reload
	v_add_f64_e32 v[54:55], v[54:55], v[62:63]
	v_mul_f64_e32 v[62:63], s[16:17], v[104:105]
	v_add_f64_e32 v[68:69], v[74:75], v[68:69]
	scratch_load_b64 v[74:75], off, off offset:36 th:TH_LOAD_LU ; 8-byte Folded Reload
	v_fma_f64 v[80:81], v[110:111], s[10:11], -v[62:63]
	v_fma_f64 v[62:63], v[110:111], s[10:11], v[62:63]
	s_delay_alu instid0(VALU_DEP_2) | instskip(SKIP_1) | instid1(VALU_DEP_3)
	v_add_f64_e32 v[52:53], v[80:81], v[52:53]
	v_mul_f64_e32 v[80:81], s[16:17], v[122:123]
	v_add_f64_e32 v[60:61], v[62:63], v[60:61]
	s_delay_alu instid0(VALU_DEP_2) | instskip(SKIP_1) | instid1(VALU_DEP_2)
	v_fma_f64 v[89:90], v[100:101], s[10:11], v[80:81]
	v_fma_f64 v[62:63], v[100:101], s[10:11], -v[80:81]
	v_add_f64_e32 v[54:55], v[89:90], v[54:55]
	v_mul_f64_e32 v[89:90], s[34:35], v[116:117]
	s_delay_alu instid0(VALU_DEP_3) | instskip(NEXT) | instid1(VALU_DEP_2)
	v_add_f64_e32 v[62:63], v[62:63], v[68:69]
	v_fma_f64 v[94:95], v[128:129], s[30:31], -v[89:90]
	v_fma_f64 v[78:79], v[128:129], s[30:31], v[89:90]
	s_delay_alu instid0(VALU_DEP_2) | instskip(SKIP_1) | instid1(VALU_DEP_3)
	v_add_f64_e32 v[52:53], v[94:95], v[52:53]
	v_mul_f64_e32 v[94:95], s[34:35], v[136:137]
	v_add_f64_e32 v[60:61], v[78:79], v[60:61]
	scratch_load_b64 v[78:79], off, off offset:76 th:TH_LOAD_LU ; 8-byte Folded Reload
	v_fma_f64 v[98:99], v[112:113], s[30:31], v[94:95]
	v_fma_f64 v[68:69], v[112:113], s[30:31], -v[94:95]
	s_delay_alu instid0(VALU_DEP_2) | instskip(SKIP_1) | instid1(VALU_DEP_3)
	v_add_f64_e32 v[54:55], v[98:99], v[54:55]
	v_mul_f64_e32 v[98:99], s[50:51], v[130:131]
	v_add_f64_e32 v[62:63], v[68:69], v[62:63]
	s_delay_alu instid0(VALU_DEP_2) | instskip(SKIP_1) | instid1(VALU_DEP_2)
	v_fma_f64 v[102:103], v[134:135], s[18:19], -v[98:99]
	v_fma_f64 v[72:73], v[134:135], s[18:19], v[98:99]
	v_add_f64_e32 v[52:53], v[102:103], v[52:53]
	v_mul_f64_e32 v[102:103], s[50:51], v[142:143]
	s_delay_alu instid0(VALU_DEP_3) | instskip(SKIP_3) | instid1(VALU_DEP_2)
	v_add_f64_e32 v[60:61], v[72:73], v[60:61]
	scratch_load_b64 v[72:73], off, off offset:52 th:TH_LOAD_LU ; 8-byte Folded Reload
	v_fma_f64 v[106:107], v[124:125], s[18:19], v[102:103]
	v_fma_f64 v[68:69], v[124:125], s[18:19], -v[102:103]
	v_add_f64_e32 v[54:55], v[106:107], v[54:55]
	v_mul_f64_e32 v[106:107], s[6:7], v[144:145]
	s_delay_alu instid0(VALU_DEP_3) | instskip(SKIP_3) | instid1(VALU_DEP_2)
	v_add_f64_e32 v[62:63], v[68:69], v[62:63]
	scratch_load_b64 v[68:69], off, off offset:68 th:TH_LOAD_LU ; 8-byte Folded Reload
	v_fma_f64 v[114:115], v[156:157], s[2:3], -v[106:107]
	v_fma_f64 v[66:67], v[156:157], s[2:3], v[106:107]
	v_add_f64_e32 v[52:53], v[114:115], v[52:53]
	v_mul_f64_e32 v[114:115], s[6:7], v[168:169]
	s_delay_alu instid0(VALU_DEP_3) | instskip(NEXT) | instid1(VALU_DEP_2)
	v_add_f64_e32 v[60:61], v[66:67], v[60:61]
	v_fma_f64 v[118:119], v[138:139], s[2:3], v[114:115]
	v_fma_f64 v[66:67], v[138:139], s[2:3], -v[114:115]
	s_delay_alu instid0(VALU_DEP_2) | instskip(SKIP_1) | instid1(VALU_DEP_3)
	v_add_f64_e32 v[54:55], v[118:119], v[54:55]
	v_mul_f64_e32 v[118:119], s[38:39], v[152:153]
	v_add_f64_e32 v[62:63], v[66:67], v[62:63]
	v_fma_f64 v[66:67], v[158:159], s[12:13], -v[126:127]
	s_delay_alu instid0(VALU_DEP_3) | instskip(SKIP_1) | instid1(VALU_DEP_2)
	v_fma_f64 v[120:121], v[166:167], s[36:37], -v[118:119]
	v_fma_f64 v[64:65], v[166:167], s[36:37], v[118:119]
	v_add_f64_e32 v[52:53], v[120:121], v[52:53]
	v_mul_f64_e32 v[120:121], s[38:39], v[170:171]
	s_delay_alu instid0(VALU_DEP_3) | instskip(NEXT) | instid1(VALU_DEP_2)
	v_add_f64_e32 v[60:61], v[64:65], v[60:61]
	v_fma_f64 v[64:65], v[148:149], s[36:37], -v[120:121]
	v_fma_f64 v[122:123], v[148:149], s[36:37], v[120:121]
	s_delay_alu instid0(VALU_DEP_2) | instskip(NEXT) | instid1(VALU_DEP_4)
	v_add_f64_e32 v[64:65], v[64:65], v[62:63]
	v_add_f64_e32 v[62:63], v[84:85], v[60:61]
	s_clause 0x1
	scratch_load_b64 v[84:85], off, off offset:28 th:TH_LOAD_LU
	scratch_load_b64 v[80:81], off, off offset:12 th:TH_LOAD_LU
	v_add_f64_e32 v[122:123], v[122:123], v[54:55]
	v_fma_f64 v[54:55], v[172:173], s[12:13], -v[132:133]
	v_add_f64_e32 v[60:61], v[66:67], v[64:65]
	scratch_load_b64 v[66:67], off, off offset:84 th:TH_LOAD_LU ; 8-byte Folded Reload
	v_mul_f64_e32 v[64:65], s[28:29], v[144:145]
	v_add_f64_e32 v[54:55], v[54:55], v[52:53]
	v_fma_f64 v[52:53], v[158:159], s[12:13], v[126:127]
	s_delay_alu instid0(VALU_DEP_1) | instskip(SKIP_1) | instid1(VALU_DEP_4)
	v_add_f64_e32 v[52:53], v[52:53], v[122:123]
	s_wait_loadcnt 0x0
	v_add_f64_e64 v[64:65], v[66:67], -v[64:65]
	v_mul_f64_e32 v[66:67], s[24:25], v[130:131]
	s_delay_alu instid0(VALU_DEP_1) | instskip(SKIP_1) | instid1(VALU_DEP_1)
	v_add_f64_e64 v[66:67], v[68:69], -v[66:67]
	v_mul_f64_e32 v[68:69], s[20:21], v[116:117]
	v_add_f64_e64 v[68:69], v[72:73], -v[68:69]
	v_mul_f64_e32 v[72:73], s[14:15], v[104:105]
	s_delay_alu instid0(VALU_DEP_1) | instskip(SKIP_1) | instid1(VALU_DEP_1)
	v_add_f64_e64 v[72:73], v[74:75], -v[72:73]
	v_mul_f64_e32 v[74:75], s[6:7], v[96:97]
	v_add_f64_e64 v[74:75], v[76:77], -v[74:75]
	v_mul_f64_e32 v[76:77], s[26:27], v[138:139]
	s_delay_alu instid0(VALU_DEP_2)
	v_add_f64_e32 v[74:75], v[74:75], v[82:83]
	scratch_load_b64 v[82:83], off, off offset:60 th:TH_LOAD_LU ; 8-byte Folded Reload
	v_add_f64_e32 v[76:77], v[76:77], v[78:79]
	v_mul_f64_e32 v[78:79], s[2:3], v[92:93]
	v_add_f64_e32 v[72:73], v[72:73], v[74:75]
	v_mul_f64_e32 v[74:75], s[34:35], v[152:153]
	s_delay_alu instid0(VALU_DEP_3) | instskip(SKIP_1) | instid1(VALU_DEP_4)
	v_add_f64_e32 v[78:79], v[78:79], v[80:81]
	v_mul_f64_e32 v[80:81], s[12:13], v[100:101]
	v_add_f64_e32 v[68:69], v[68:69], v[72:73]
	v_mul_f64_e32 v[72:73], s[30:31], v[148:149]
	s_delay_alu instid0(VALU_DEP_4) | instskip(NEXT) | instid1(VALU_DEP_4)
	v_add_f64_e32 v[70:71], v[78:79], v[70:71]
	v_add_f64_e32 v[80:81], v[80:81], v[84:85]
	v_mul_f64_e32 v[84:85], s[18:19], v[112:113]
	v_mul_f64_e32 v[78:79], s[22:23], v[124:125]
	v_add_f64_e32 v[66:67], v[66:67], v[68:69]
	s_delay_alu instid0(VALU_DEP_4) | instskip(SKIP_3) | instid1(VALU_DEP_2)
	v_add_f64_e32 v[70:71], v[80:81], v[70:71]
	scratch_load_b64 v[80:81], off, off offset:100 th:TH_LOAD_LU ; 8-byte Folded Reload
	v_add_f64_e32 v[84:85], v[84:85], v[86:87]
	v_add_f64_e32 v[64:65], v[64:65], v[66:67]
	;; [unrolled: 1-line block ×3, first 2 shown]
	s_wait_loadcnt 0x1
	v_add_f64_e32 v[78:79], v[78:79], v[82:83]
	s_delay_alu instid0(VALU_DEP_1)
	v_add_f64_e32 v[68:69], v[78:79], v[70:71]
	scratch_load_b64 v[78:79], off, off offset:116 th:TH_LOAD_LU ; 8-byte Folded Reload
	v_mul_f64_e32 v[70:71], s[38:39], v[162:163]
	v_add_f64_e32 v[66:67], v[76:77], v[68:69]
	v_mul_f64_e32 v[68:69], s[36:37], v[158:159]
	scratch_load_b64 v[76:77], off, off offset:108 th:TH_LOAD_LU ; 8-byte Folded Reload
	s_wait_loadcnt 0x2
	v_add_f64_e64 v[74:75], v[80:81], -v[74:75]
	scratch_load_b64 v[80:81], off, off offset:92 th:TH_LOAD_LU ; 8-byte Folded Reload
	v_add_f64_e32 v[64:65], v[74:75], v[64:65]
	s_wait_loadcnt 0x2
	v_add_f64_e64 v[70:71], v[78:79], -v[70:71]
	s_wait_loadcnt 0x1
	v_add_f64_e32 v[68:69], v[68:69], v[76:77]
	s_wait_loadcnt 0x0
	v_add_f64_e32 v[72:73], v[72:73], v[80:81]
	s_delay_alu instid0(VALU_DEP_1) | instskip(NEXT) | instid1(VALU_DEP_4)
	v_add_f64_e32 v[72:73], v[72:73], v[66:67]
	v_add_f64_e32 v[66:67], v[70:71], v[64:65]
	s_delay_alu instid0(VALU_DEP_2) | instskip(SKIP_1) | instid1(VALU_DEP_1)
	v_add_f64_e32 v[64:65], v[68:69], v[72:73]
	v_mul_u32_u24_e32 v68, 0x110, v88
	v_add3_u32 v68, 0, v68, v216
	ds_store_b128 v68, v[36:39] offset:32
	ds_store_b128 v68, v[40:43] offset:48
	ds_store_b128 v68, v[44:47] offset:64
	ds_store_b128 v68, v[48:51] offset:80
	ds_store_b128 v68, v[52:55] offset:96
	ds_store_b128 v68, v[56:59] offset:112
	ds_store_b128 v68, v[28:31] offset:128
	ds_store_b128 v68, v[12:15] offset:192
	ds_store_b128 v68, v[16:19] offset:208
	ds_store_b128 v68, v[8:11] offset:224
	ds_store_b128 v68, v[4:7] offset:240
	ds_store_b128 v68, v[24:27] offset:144
	ds_store_b128 v68, v[32:35] offset:160
	ds_store_b128 v68, v[60:63] offset:176
	ds_store_b128 v68, v[64:67] offset:16
	ds_store_b128 v68, v[20:23]
	ds_store_b128 v68, v[0:3] offset:256
.LBB0_13:
	s_wait_alu 0xfffe
	s_or_b32 exec_lo, exec_lo, s1
	global_wb scope:SCOPE_SE
	s_wait_dscnt 0x0
	s_barrier_signal -1
	s_barrier_wait -1
	global_inv scope:SCOPE_SE
	ds_load_b128 v[28:31], v91
	ds_load_b128 v[24:27], v214 offset:1632
	ds_load_b128 v[40:43], v214 offset:3536
	;; [unrolled: 1-line block ×11, first 2 shown]
	v_cmp_gt_u32_e64 s0, 17, v88
                                        ; implicit-def: $vgpr22_vgpr23
	s_delay_alu instid0(VALU_DEP_1)
	s_and_saveexec_b32 s1, s0
	s_cbranch_execz .LBB0_15
; %bb.14:
	ds_load_b128 v[12:15], v214 offset:3264
	ds_load_b128 v[16:19], v214 offset:6800
	;; [unrolled: 1-line block ×6, first 2 shown]
.LBB0_15:
	s_wait_alu 0xfffe
	s_or_b32 exec_lo, exec_lo, s1
	v_and_b32_e32 v72, 0xff, v88
	v_add_nc_u16 v73, v88, 0x66
	s_mov_b32 s2, 0xe8584caa
	s_mov_b32 s3, 0xbfebb67a
	;; [unrolled: 1-line block ×3, first 2 shown]
	v_mul_lo_u16 v72, 0xf1, v72
	v_and_b32_e32 v74, 0xff, v73
	s_wait_alu 0xfffe
	s_mov_b32 s6, s2
	s_delay_alu instid0(VALU_DEP_2) | instskip(NEXT) | instid1(VALU_DEP_2)
	v_lshrrev_b16 v124, 12, v72
	v_mul_lo_u16 v72, 0xf1, v74
	s_delay_alu instid0(VALU_DEP_2) | instskip(NEXT) | instid1(VALU_DEP_2)
	v_mul_lo_u16 v74, v124, 17
	v_lshrrev_b16 v125, 12, v72
	s_delay_alu instid0(VALU_DEP_2) | instskip(NEXT) | instid1(VALU_DEP_2)
	v_sub_nc_u16 v72, v88, v74
	v_mul_lo_u16 v74, v125, 17
	s_delay_alu instid0(VALU_DEP_2) | instskip(NEXT) | instid1(VALU_DEP_2)
	v_and_b32_e32 v126, 0xff, v72
	v_sub_nc_u16 v72, v73, v74
	s_delay_alu instid0(VALU_DEP_2) | instskip(NEXT) | instid1(VALU_DEP_2)
	v_mul_u32_u24_e32 v73, 5, v126
	v_and_b32_e32 v127, 0xff, v72
	s_delay_alu instid0(VALU_DEP_2) | instskip(NEXT) | instid1(VALU_DEP_2)
	v_lshlrev_b32_e32 v89, 4, v73
	v_mul_u32_u24_e32 v80, 5, v127
	s_clause 0x1
	global_load_b128 v[72:75], v89, s[4:5] offset:32
	global_load_b128 v[76:79], v89, s[4:5] offset:64
	v_lshlrev_b32_e32 v90, 4, v80
	s_clause 0x7
	global_load_b128 v[80:83], v90, s[4:5] offset:32
	global_load_b128 v[84:87], v90, s[4:5] offset:64
	global_load_b128 v[92:95], v89, s[4:5]
	global_load_b128 v[96:99], v90, s[4:5]
	global_load_b128 v[100:103], v89, s[4:5] offset:16
	global_load_b128 v[104:107], v89, s[4:5] offset:48
	;; [unrolled: 1-line block ×4, first 2 shown]
	global_wb scope:SCOPE_SE
	s_wait_loadcnt_dscnt 0x0
	s_barrier_signal -1
	s_barrier_wait -1
	global_inv scope:SCOPE_SE
	v_mul_f64_e32 v[118:119], v[56:57], v[82:83]
	v_mul_f64_e32 v[89:90], v[64:65], v[74:75]
	;; [unrolled: 1-line block ×10, first 2 shown]
	v_fma_f64 v[58:59], v[58:59], v[80:81], -v[118:119]
	v_fma_f64 v[66:67], v[66:67], v[72:73], -v[89:90]
	v_fma_f64 v[70:71], v[70:71], v[76:77], -v[116:117]
	v_mul_f64_e32 v[89:90], v[32:33], v[98:99]
	v_fma_f64 v[62:63], v[62:63], v[84:85], -v[120:121]
	v_mul_f64_e32 v[116:117], v[50:51], v[102:103]
	v_mul_f64_e32 v[102:103], v[48:49], v[102:103]
	;; [unrolled: 1-line block ×4, first 2 shown]
	v_fma_f64 v[64:65], v[64:65], v[72:73], v[74:75]
	v_fma_f64 v[68:69], v[68:69], v[76:77], v[78:79]
	v_fma_f64 v[42:43], v[42:43], v[92:93], -v[122:123]
	v_mul_f64_e32 v[98:99], v[34:35], v[98:99]
	v_mul_f64_e32 v[74:75], v[38:39], v[110:111]
	;; [unrolled: 1-line block ×5, first 2 shown]
	v_fma_f64 v[56:57], v[56:57], v[80:81], v[82:83]
	v_fma_f64 v[60:61], v[60:61], v[84:85], v[86:87]
	;; [unrolled: 1-line block ×3, first 2 shown]
	v_add_f64_e32 v[72:73], v[66:67], v[70:71]
	v_fma_f64 v[34:35], v[34:35], v[96:97], -v[89:90]
	v_add_f64_e32 v[80:81], v[58:59], v[62:63]
	v_fma_f64 v[48:49], v[48:49], v[100:101], v[116:117]
	v_fma_f64 v[50:51], v[50:51], v[100:101], -v[102:103]
	v_fma_f64 v[52:53], v[52:53], v[104:105], v[118:119]
	v_fma_f64 v[54:55], v[54:55], v[104:105], -v[106:107]
	v_add_f64_e64 v[89:90], v[66:67], -v[70:71]
	v_add_f64_e32 v[82:83], v[64:65], v[68:69]
	v_add_f64_e64 v[84:85], v[64:65], -v[68:69]
	v_fma_f64 v[32:33], v[32:33], v[96:97], v[98:99]
	v_fma_f64 v[36:37], v[36:37], v[108:109], v[74:75]
	v_fma_f64 v[38:39], v[38:39], v[108:109], -v[76:77]
	v_fma_f64 v[44:45], v[44:45], v[112:113], v[78:79]
	v_fma_f64 v[46:47], v[46:47], v[112:113], -v[110:111]
	v_add_f64_e64 v[96:97], v[58:59], -v[62:63]
	v_add_f64_e32 v[74:75], v[56:57], v[60:61]
	v_add_f64_e64 v[76:77], v[56:57], -v[60:61]
	v_fma_f64 v[72:73], v[72:73], -0.5, v[42:43]
	v_add_f64_e32 v[42:43], v[42:43], v[66:67]
	v_fma_f64 v[78:79], v[80:81], -0.5, v[34:35]
	v_add_f64_e32 v[34:35], v[34:35], v[58:59]
	v_add_f64_e32 v[80:81], v[48:49], v[52:53]
	;; [unrolled: 1-line block ×3, first 2 shown]
	v_add_f64_e64 v[100:101], v[50:51], -v[54:55]
	v_fma_f64 v[82:83], v[82:83], -0.5, v[40:41]
	v_add_f64_e32 v[50:51], v[30:31], v[50:51]
	v_add_f64_e32 v[40:41], v[40:41], v[64:65]
	;; [unrolled: 1-line block ×4, first 2 shown]
	v_add_f64_e64 v[66:67], v[38:39], -v[46:47]
	v_fma_f64 v[74:75], v[74:75], -0.5, v[32:33]
	v_add_f64_e32 v[38:39], v[26:27], v[38:39]
	v_add_f64_e32 v[32:33], v[32:33], v[56:57]
	s_wait_alu 0xfffe
	v_fma_f64 v[92:93], v[84:85], s[6:7], v[72:73]
	v_fma_f64 v[72:73], v[84:85], s[2:3], v[72:73]
	v_add_f64_e32 v[84:85], v[36:37], v[44:45]
	v_fma_f64 v[98:99], v[76:77], s[6:7], v[78:79]
	v_fma_f64 v[76:77], v[76:77], s[2:3], v[78:79]
	v_add_f64_e32 v[78:79], v[28:29], v[48:49]
	v_add_f64_e64 v[48:49], v[48:49], -v[52:53]
	v_fma_f64 v[28:29], v[80:81], -0.5, v[28:29]
	v_fma_f64 v[30:31], v[86:87], -0.5, v[30:31]
	v_fma_f64 v[56:57], v[89:90], s[2:3], v[82:83]
	v_fma_f64 v[58:59], v[89:90], s[6:7], v[82:83]
	v_add_f64_e64 v[36:37], v[36:37], -v[44:45]
	v_add_f64_e32 v[50:51], v[50:51], v[54:55]
	v_add_f64_e32 v[40:41], v[40:41], v[68:69]
	v_fma_f64 v[26:27], v[94:95], -0.5, v[26:27]
	v_add_f64_e32 v[42:43], v[42:43], v[70:71]
	v_add_f64_e32 v[44:45], v[64:65], v[44:45]
	;; [unrolled: 1-line block ×5, first 2 shown]
	v_mul_f64_e32 v[80:81], s[2:3], v[92:93]
	v_mul_f64_e32 v[86:87], 0.5, v[92:93]
	v_mul_f64_e32 v[82:83], s[2:3], v[72:73]
	v_mul_f64_e32 v[72:73], -0.5, v[72:73]
	v_fma_f64 v[24:25], v[84:85], -0.5, v[24:25]
	v_fma_f64 v[84:85], v[96:97], s[2:3], v[74:75]
	v_mul_f64_e32 v[89:90], s[2:3], v[98:99]
	v_mul_f64_e32 v[94:95], 0.5, v[98:99]
	v_fma_f64 v[74:75], v[96:97], s[6:7], v[74:75]
	v_mul_f64_e32 v[92:93], s[2:3], v[76:77]
	v_mul_f64_e32 v[76:77], -0.5, v[76:77]
	v_add_f64_e32 v[52:53], v[78:79], v[52:53]
	v_fma_f64 v[60:61], v[100:101], s[2:3], v[28:29]
	v_fma_f64 v[64:65], v[48:49], s[6:7], v[30:31]
	;; [unrolled: 1-line block ×5, first 2 shown]
	v_add_f64_e64 v[30:31], v[50:51], -v[42:43]
	v_add_f64_e32 v[32:33], v[44:45], v[46:47]
	v_add_f64_e32 v[34:35], v[38:39], v[54:55]
	v_add_f64_e64 v[38:39], v[38:39], -v[54:55]
	v_fma_f64 v[48:49], v[56:57], 0.5, v[80:81]
	v_fma_f64 v[56:57], v[56:57], s[6:7], v[86:87]
	v_fma_f64 v[70:71], v[58:59], -0.5, v[82:83]
	v_fma_f64 v[58:59], v[58:59], s[6:7], v[72:73]
	v_fma_f64 v[72:73], v[66:67], s[2:3], v[24:25]
	;; [unrolled: 1-line block ×3, first 2 shown]
	v_fma_f64 v[82:83], v[84:85], 0.5, v[89:90]
	v_fma_f64 v[84:85], v[84:85], s[6:7], v[94:95]
	v_fma_f64 v[80:81], v[36:37], s[2:3], v[26:27]
	v_fma_f64 v[86:87], v[74:75], -0.5, v[92:93]
	v_fma_f64 v[74:75], v[74:75], s[6:7], v[76:77]
	v_add_f64_e32 v[24:25], v[52:53], v[40:41]
	v_add_f64_e32 v[26:27], v[50:51], v[42:43]
	v_add_f64_e64 v[28:29], v[52:53], -v[40:41]
	v_add_f64_e64 v[36:37], v[44:45], -v[46:47]
	v_add_f64_e32 v[40:41], v[60:61], v[48:49]
	v_add_f64_e32 v[42:43], v[64:65], v[56:57]
	v_add_f64_e32 v[44:45], v[62:63], v[70:71]
	v_add_f64_e32 v[46:47], v[68:69], v[58:59]
	v_add_f64_e64 v[48:49], v[60:61], -v[48:49]
	v_add_f64_e64 v[50:51], v[64:65], -v[56:57]
	;; [unrolled: 1-line block ×4, first 2 shown]
	v_add_f64_e32 v[56:57], v[72:73], v[82:83]
	v_add_f64_e32 v[58:59], v[78:79], v[84:85]
	;; [unrolled: 1-line block ×4, first 2 shown]
	v_add_f64_e64 v[64:65], v[72:73], -v[82:83]
	v_add_f64_e64 v[68:69], v[66:67], -v[86:87]
	;; [unrolled: 1-line block ×4, first 2 shown]
	v_and_b32_e32 v72, 0xffff, v124
	v_and_b32_e32 v73, 0xffff, v125
	v_lshlrev_b32_e32 v74, 4, v126
	v_lshlrev_b32_e32 v75, 4, v127
	s_delay_alu instid0(VALU_DEP_4) | instskip(NEXT) | instid1(VALU_DEP_4)
	v_mad_u32_u24 v72, 0x660, v72, 0
	v_mad_u32_u24 v73, 0x660, v73, 0
	s_delay_alu instid0(VALU_DEP_2) | instskip(NEXT) | instid1(VALU_DEP_2)
	v_add3_u32 v72, v72, v74, v216
	v_add3_u32 v73, v73, v75, v216
	ds_store_b128 v72, v[24:27]
	ds_store_b128 v72, v[40:43] offset:272
	ds_store_b128 v72, v[44:47] offset:544
	;; [unrolled: 1-line block ×5, first 2 shown]
	ds_store_b128 v73, v[32:35]
	ds_store_b128 v73, v[56:59] offset:272
	ds_store_b128 v73, v[60:63] offset:544
	ds_store_b128 v73, v[36:39] offset:816
	ds_store_b128 v73, v[64:67] offset:1088
	ds_store_b128 v73, v[68:71] offset:1360
	s_and_saveexec_b32 s1, s0
	s_cbranch_execz .LBB0_17
; %bb.16:
	v_add_nc_u32_e32 v24, 0xcc, v88
	s_delay_alu instid0(VALU_DEP_1) | instskip(NEXT) | instid1(VALU_DEP_1)
	v_and_b32_e32 v25, 0xffff, v24
	v_mul_u32_u24_e32 v25, 0xf0f1, v25
	s_delay_alu instid0(VALU_DEP_1) | instskip(NEXT) | instid1(VALU_DEP_1)
	v_lshrrev_b32_e32 v25, 20, v25
	v_mul_lo_u16 v25, v25, 17
	s_delay_alu instid0(VALU_DEP_1) | instskip(NEXT) | instid1(VALU_DEP_1)
	v_sub_nc_u16 v24, v24, v25
	v_and_b32_e32 v50, 0xffff, v24
	s_delay_alu instid0(VALU_DEP_1) | instskip(NEXT) | instid1(VALU_DEP_1)
	v_mul_u32_u24_e32 v24, 5, v50
	v_lshlrev_b32_e32 v40, 4, v24
	s_clause 0x4
	global_load_b128 v[24:27], v40, s[4:5] offset:32
	global_load_b128 v[28:31], v40, s[4:5] offset:64
	global_load_b128 v[32:35], v40, s[4:5]
	global_load_b128 v[36:39], v40, s[4:5] offset:16
	global_load_b128 v[40:43], v40, s[4:5] offset:48
	s_wait_loadcnt 0x4
	v_mul_f64_e32 v[44:45], v[4:5], v[26:27]
	s_wait_loadcnt 0x3
	v_mul_f64_e32 v[46:47], v[20:21], v[30:31]
	v_mul_f64_e32 v[26:27], v[6:7], v[26:27]
	;; [unrolled: 1-line block ×3, first 2 shown]
	s_wait_loadcnt 0x2
	v_mul_f64_e32 v[48:49], v[16:17], v[34:35]
	v_mul_f64_e32 v[34:35], v[18:19], v[34:35]
	v_fma_f64 v[6:7], v[6:7], v[24:25], -v[44:45]
	v_fma_f64 v[22:23], v[22:23], v[28:29], -v[46:47]
	s_wait_loadcnt 0x1
	v_mul_f64_e32 v[44:45], v[8:9], v[38:39]
	s_wait_loadcnt 0x0
	v_mul_f64_e32 v[46:47], v[0:1], v[42:43]
	v_mul_f64_e32 v[38:39], v[10:11], v[38:39]
	;; [unrolled: 1-line block ×3, first 2 shown]
	v_fma_f64 v[4:5], v[4:5], v[24:25], v[26:27]
	v_fma_f64 v[20:21], v[20:21], v[28:29], v[30:31]
	v_fma_f64 v[18:19], v[18:19], v[32:33], -v[48:49]
	v_fma_f64 v[16:17], v[16:17], v[32:33], v[34:35]
	v_add_f64_e32 v[24:25], v[6:7], v[22:23]
	v_fma_f64 v[10:11], v[10:11], v[36:37], -v[44:45]
	v_fma_f64 v[2:3], v[2:3], v[40:41], -v[46:47]
	v_fma_f64 v[8:9], v[8:9], v[36:37], v[38:39]
	v_fma_f64 v[0:1], v[0:1], v[40:41], v[42:43]
	v_add_f64_e64 v[32:33], v[6:7], -v[22:23]
	v_add_f64_e32 v[26:27], v[4:5], v[20:21]
	v_add_f64_e64 v[28:29], v[4:5], -v[20:21]
	v_add_f64_e32 v[6:7], v[18:19], v[6:7]
	v_add_f64_e32 v[4:5], v[16:17], v[4:5]
	v_fma_f64 v[24:25], v[24:25], -0.5, v[18:19]
	v_add_f64_e32 v[38:39], v[14:15], v[10:11]
	v_add_f64_e32 v[30:31], v[10:11], v[2:3]
	v_add_f64_e64 v[10:11], v[10:11], -v[2:3]
	v_add_f64_e32 v[34:35], v[8:9], v[0:1]
	v_fma_f64 v[26:27], v[26:27], -0.5, v[16:17]
	v_add_f64_e32 v[6:7], v[6:7], v[22:23]
	v_add_f64_e32 v[4:5], v[4:5], v[20:21]
	v_fma_f64 v[36:37], v[28:29], s[2:3], v[24:25]
	v_fma_f64 v[24:25], v[28:29], s[6:7], v[24:25]
	v_add_f64_e64 v[28:29], v[8:9], -v[0:1]
	v_add_f64_e32 v[8:9], v[12:13], v[8:9]
	v_fma_f64 v[14:15], v[30:31], -0.5, v[14:15]
	v_fma_f64 v[12:13], v[34:35], -0.5, v[12:13]
	v_fma_f64 v[16:17], v[32:33], s[6:7], v[26:27]
	v_fma_f64 v[26:27], v[32:33], s[2:3], v[26:27]
	v_add_f64_e32 v[34:35], v[38:39], v[2:3]
	v_mul_f64_e32 v[18:19], -0.5, v[36:37]
	v_mul_f64_e32 v[30:31], 0.5, v[24:25]
	v_mul_f64_e32 v[24:25], s[2:3], v[24:25]
	v_mul_f64_e32 v[32:33], s[2:3], v[36:37]
	v_add_f64_e32 v[8:9], v[8:9], v[0:1]
	v_fma_f64 v[22:23], v[28:29], s[6:7], v[14:15]
	v_fma_f64 v[36:37], v[10:11], s[2:3], v[12:13]
	;; [unrolled: 1-line block ×4, first 2 shown]
	v_add_f64_e64 v[2:3], v[34:35], -v[6:7]
	v_add_f64_e32 v[6:7], v[34:35], v[6:7]
	v_fma_f64 v[14:15], v[16:17], s[6:7], v[18:19]
	v_fma_f64 v[30:31], v[26:27], s[6:7], v[30:31]
	v_fma_f64 v[24:25], v[26:27], 0.5, v[24:25]
	v_fma_f64 v[26:27], v[16:17], -0.5, v[32:33]
	v_add_f64_e64 v[0:1], v[8:9], -v[4:5]
	v_add_f64_e32 v[4:5], v[8:9], v[4:5]
	v_add_f64_e64 v[10:11], v[20:21], -v[14:15]
	v_add_f64_e32 v[18:19], v[22:23], v[30:31]
	v_add_f64_e32 v[16:17], v[36:37], v[24:25]
	;; [unrolled: 1-line block ×4, first 2 shown]
	v_add_f64_e64 v[22:23], v[22:23], -v[30:31]
	v_add_f64_e64 v[20:21], v[36:37], -v[24:25]
	;; [unrolled: 1-line block ×3, first 2 shown]
	v_lshlrev_b32_e32 v24, 4, v50
	s_delay_alu instid0(VALU_DEP_1)
	v_add3_u32 v24, 0, v24, v216
	ds_store_b128 v24, v[4:7] offset:19584
	ds_store_b128 v24, v[16:19] offset:19856
	;; [unrolled: 1-line block ×6, first 2 shown]
.LBB0_17:
	s_wait_alu 0xfffe
	s_or_b32 exec_lo, exec_lo, s1
	v_mul_u32_u24_e32 v0, 12, v88
	global_wb scope:SCOPE_SE
	s_wait_dscnt 0x0
	s_barrier_signal -1
	s_barrier_wait -1
	global_inv scope:SCOPE_SE
	v_lshlrev_b32_e32 v0, 4, v0
	s_mov_b32 s2, 0x4267c47c
	s_mov_b32 s6, 0xe00740e9
	;; [unrolled: 1-line block ×4, first 2 shown]
	s_clause 0xb
	global_load_b128 v[4:7], v0, s[4:5] offset:1360
	global_load_b128 v[10:13], v0, s[4:5] offset:1536
	;; [unrolled: 1-line block ×12, first 2 shown]
	ds_load_b128 v[54:57], v214 offset:1632
	ds_load_b128 v[58:61], v214 offset:19584
	;; [unrolled: 1-line block ×4, first 2 shown]
	ds_load_b128 v[0:3], v91
	ds_load_b128 v[70:73], v214 offset:4896
	ds_load_b128 v[74:77], v214 offset:16320
	;; [unrolled: 1-line block ×8, first 2 shown]
	s_mov_b32 s3, 0xbfddbe06
	s_mov_b32 s7, 0x3fec55a7
	;; [unrolled: 1-line block ×22, first 2 shown]
	s_wait_alu 0xfffe
	s_mov_b32 s10, s2
	s_mov_b32 s14, s0
	s_mov_b32 s21, 0x3fefc445
	s_mov_b32 s20, s16
	s_mov_b32 s27, 0x3fedeba7
	s_mov_b32 s35, 0x3fe5384d
	s_mov_b32 s26, s22
	s_mov_b32 s34, s28
	s_mov_b32 s41, 0x3fcea1e5
	s_mov_b32 s40, s36
	global_wb scope:SCOPE_SE
	s_wait_loadcnt_dscnt 0x0
	s_barrier_signal -1
	s_barrier_wait -1
	global_inv scope:SCOPE_SE
	v_mul_f64_e32 v[8:9], v[56:57], v[6:7]
	v_mul_f64_e32 v[6:7], v[54:55], v[6:7]
	;; [unrolled: 1-line block ×24, first 2 shown]
	v_fma_f64 v[54:55], v[54:55], v[4:5], v[8:9]
	v_fma_f64 v[56:57], v[56:57], v[4:5], -v[6:7]
	v_fma_f64 v[4:5], v[60:61], v[10:11], -v[86:87]
	;; [unrolled: 1-line block ×4, first 2 shown]
	v_fma_f64 v[62:63], v[62:63], v[14:15], v[16:17]
	v_fma_f64 v[6:7], v[58:59], v[10:11], v[12:13]
	;; [unrolled: 1-line block ×4, first 2 shown]
	v_fma_f64 v[14:15], v[76:77], v[30:31], -v[32:33]
	v_fma_f64 v[32:33], v[82:83], v[34:35], v[116:117]
	v_fma_f64 v[16:17], v[104:105], v[38:39], v[118:119]
	v_fma_f64 v[18:19], v[106:107], v[38:39], -v[40:41]
	v_fma_f64 v[34:35], v[84:85], v[34:35], -v[36:37]
	v_fma_f64 v[36:37], v[92:93], v[42:43], v[120:121]
	v_fma_f64 v[40:41], v[94:95], v[42:43], -v[44:45]
	v_fma_f64 v[58:59], v[70:71], v[22:23], v[110:111]
	;; [unrolled: 2-line block ×5, first 2 shown]
	v_fma_f64 v[24:25], v[98:99], v[50:51], -v[52:53]
	v_add_f64_e32 v[38:39], v[0:1], v[54:55]
	v_add_f64_e32 v[42:43], v[2:3], v[56:57]
	v_add_f64_e64 v[44:45], v[56:57], -v[4:5]
	v_add_f64_e32 v[46:47], v[56:57], v[4:5]
	v_add_f64_e64 v[48:49], v[60:61], -v[8:9]
	v_add_f64_e32 v[50:51], v[60:61], v[8:9]
	v_add_f64_e32 v[52:53], v[54:55], v[6:7]
	v_add_f64_e64 v[54:55], v[54:55], -v[6:7]
	v_add_f64_e32 v[56:57], v[62:63], v[10:11]
	v_add_f64_e64 v[66:67], v[62:63], -v[10:11]
	v_add_f64_e32 v[68:69], v[58:59], v[12:13]
	v_add_f64_e32 v[70:71], v[64:65], v[14:15]
	;; [unrolled: 1-line block ×4, first 2 shown]
	v_add_f64_e64 v[80:81], v[30:31], -v[16:17]
	v_add_f64_e64 v[82:83], v[28:29], -v[18:19]
	v_add_f64_e64 v[74:75], v[64:65], -v[14:15]
	v_add_f64_e64 v[72:73], v[58:59], -v[12:13]
	v_add_f64_e32 v[86:87], v[34:35], v[22:23]
	v_add_f64_e32 v[92:93], v[36:37], v[26:27]
	;; [unrolled: 1-line block ×3, first 2 shown]
	v_add_f64_e64 v[96:97], v[36:37], -v[26:27]
	v_add_f64_e64 v[98:99], v[40:41], -v[24:25]
	v_add_f64_e32 v[84:85], v[32:33], v[20:21]
	v_add_f64_e64 v[89:90], v[32:33], -v[20:21]
	v_add_f64_e32 v[38:39], v[38:39], v[62:63]
	v_add_f64_e32 v[42:43], v[42:43], v[60:61]
	v_mul_f64_e32 v[60:61], s[2:3], v[44:45]
	v_mul_f64_e32 v[100:101], s[6:7], v[46:47]
	;; [unrolled: 1-line block ×18, first 2 shown]
	s_wait_alu 0xfffe
	v_mul_f64_e32 v[130:131], s[34:35], v[48:49]
	v_mul_f64_e32 v[132:133], s[30:31], v[50:51]
	;; [unrolled: 1-line block ×6, first 2 shown]
	v_add_f64_e64 v[62:63], v[34:35], -v[22:23]
	v_mul_f64_e32 v[138:139], s[16:17], v[74:75]
	v_mul_f64_e32 v[140:141], s[18:19], v[70:71]
	;; [unrolled: 1-line block ×11, first 2 shown]
	v_add_f64_e32 v[38:39], v[38:39], v[58:59]
	v_add_f64_e32 v[42:43], v[42:43], v[64:65]
	v_fma_f64 v[182:183], v[52:53], s[6:7], v[60:61]
	v_fma_f64 v[184:185], v[54:55], s[10:11], v[100:101]
	v_fma_f64 v[60:61], v[52:53], s[6:7], -v[60:61]
	v_fma_f64 v[100:101], v[54:55], s[2:3], v[100:101]
	v_fma_f64 v[186:187], v[52:53], s[12:13], v[102:103]
	;; [unrolled: 1-line block ×5, first 2 shown]
	v_fma_f64 v[102:103], v[52:53], s[12:13], -v[102:103]
	v_fma_f64 v[106:107], v[52:53], s[18:19], -v[106:107]
	v_fma_f64 v[194:195], v[52:53], s[24:25], v[110:111]
	v_fma_f64 v[196:197], v[54:55], s[26:27], v[112:113]
	;; [unrolled: 1-line block ×6, first 2 shown]
	v_fma_f64 v[110:111], v[52:53], s[24:25], -v[110:111]
	v_fma_f64 v[116:117], v[54:55], s[28:29], v[116:117]
	v_fma_f64 v[44:45], v[52:53], s[38:39], -v[44:45]
	v_mul_f64_e32 v[58:59], s[6:7], v[70:71]
	v_mul_f64_e32 v[70:71], s[30:31], v[70:71]
	;; [unrolled: 1-line block ×13, first 2 shown]
	v_fma_f64 v[202:203], v[56:57], s[24:25], v[122:123]
	v_fma_f64 v[204:205], v[66:67], s[26:27], v[124:125]
	;; [unrolled: 1-line block ×4, first 2 shown]
	v_add_f64_e32 v[30:31], v[38:39], v[30:31]
	v_add_f64_e32 v[28:29], v[42:43], v[28:29]
	v_fma_f64 v[38:39], v[54:55], s[22:23], v[112:113]
	v_fma_f64 v[112:113], v[52:53], s[30:31], v[114:115]
	v_fma_f64 v[114:115], v[52:53], s[30:31], -v[114:115]
	v_fma_f64 v[42:43], v[54:55], s[40:41], v[46:47]
	v_fma_f64 v[46:47], v[54:55], s[36:37], v[46:47]
	v_fma_f64 v[52:53], v[56:57], s[12:13], v[118:119]
	v_fma_f64 v[54:55], v[66:67], s[14:15], v[120:121]
	v_fma_f64 v[118:119], v[56:57], s[12:13], -v[118:119]
	v_fma_f64 v[120:121], v[66:67], s[0:1], v[120:121]
	v_add_f64_e32 v[182:183], v[0:1], v[182:183]
	v_add_f64_e32 v[60:61], v[0:1], v[60:61]
	;; [unrolled: 1-line block ×7, first 2 shown]
	v_fma_f64 v[122:123], v[56:57], s[24:25], -v[122:123]
	v_fma_f64 v[126:127], v[56:57], s[38:39], -v[126:127]
	v_fma_f64 v[210:211], v[56:57], s[30:31], v[130:131]
	v_fma_f64 v[212:213], v[66:67], s[28:29], v[132:133]
	v_add_f64_e32 v[102:103], v[0:1], v[102:103]
	v_add_f64_e32 v[106:107], v[0:1], v[106:107]
	;; [unrolled: 1-line block ×4, first 2 shown]
	v_fma_f64 v[216:217], v[56:57], s[18:19], v[134:135]
	v_fma_f64 v[218:219], v[66:67], s[16:17], v[136:137]
	v_add_f64_e32 v[198:199], v[2:3], v[198:199]
	v_fma_f64 v[134:135], v[56:57], s[18:19], -v[134:135]
	v_fma_f64 v[220:221], v[56:57], s[6:7], v[48:49]
	v_fma_f64 v[222:223], v[66:67], s[2:3], v[50:51]
	v_add_f64_e32 v[200:201], v[0:1], v[200:201]
	v_fma_f64 v[48:49], v[56:57], s[6:7], -v[48:49]
	v_fma_f64 v[50:51], v[66:67], s[10:11], v[50:51]
	v_add_f64_e32 v[184:185], v[2:3], v[184:185]
	v_add_f64_e32 v[104:105], v[2:3], v[104:105]
	;; [unrolled: 1-line block ×13, first 2 shown]
	v_fma_f64 v[136:137], v[66:67], s[20:21], v[136:137]
	v_fma_f64 v[130:131], v[56:57], s[30:31], -v[130:131]
	v_fma_f64 v[132:133], v[66:67], s[34:35], v[132:133]
	v_fma_f64 v[128:129], v[66:67], s[36:37], v[128:129]
	;; [unrolled: 1-line block ×3, first 2 shown]
	v_mul_f64_e32 v[174:175], s[28:29], v[62:63]
	v_mul_f64_e32 v[176:177], s[30:31], v[86:87]
	;; [unrolled: 1-line block ×4, first 2 shown]
	v_fma_f64 v[56:57], v[68:69], s[18:19], v[138:139]
	v_fma_f64 v[66:67], v[72:73], s[20:21], v[140:141]
	v_fma_f64 v[138:139], v[68:69], s[18:19], -v[138:139]
	v_fma_f64 v[32:33], v[72:73], s[16:17], v[140:141]
	v_fma_f64 v[140:141], v[68:69], s[38:39], v[142:143]
	v_fma_f64 v[224:225], v[72:73], s[40:41], v[144:145]
	v_fma_f64 v[142:143], v[68:69], s[38:39], -v[142:143]
	v_fma_f64 v[144:145], v[72:73], s[36:37], v[144:145]
	;; [unrolled: 4-line block ×4, first 2 shown]
	v_fma_f64 v[232:233], v[68:69], s[12:13], v[152:153]
	v_fma_f64 v[234:235], v[72:73], s[14:15], v[154:155]
	v_fma_f64 v[152:153], v[68:69], s[12:13], -v[152:153]
	v_add_f64_e32 v[30:31], v[30:31], v[36:37]
	v_add_f64_e32 v[28:29], v[28:29], v[40:41]
	v_fma_f64 v[154:155], v[72:73], s[0:1], v[154:155]
	v_fma_f64 v[236:237], v[68:69], s[30:31], v[74:75]
	v_fma_f64 v[238:239], v[72:73], s[34:35], v[70:71]
	v_fma_f64 v[68:69], v[68:69], s[30:31], -v[74:75]
	v_fma_f64 v[70:71], v[72:73], s[28:29], v[70:71]
	v_fma_f64 v[72:73], v[76:77], s[24:25], v[156:157]
	v_fma_f64 v[74:75], v[80:81], s[26:27], v[64:65]
	v_fma_f64 v[156:157], v[76:77], s[24:25], -v[156:157]
	;; [unrolled: 4-line block ×6, first 2 shown]
	v_fma_f64 v[170:171], v[80:81], s[40:41], v[172:173]
	v_fma_f64 v[172:173], v[76:77], s[12:13], v[82:83]
	v_fma_f64 v[76:77], v[76:77], s[12:13], -v[82:83]
	v_fma_f64 v[82:83], v[80:81], s[0:1], v[78:79]
	v_fma_f64 v[78:79], v[80:81], s[14:15], v[78:79]
	v_mul_f64_e32 v[80:81], s[0:1], v[62:63]
	v_add_f64_e32 v[52:53], v[52:53], v[182:183]
	v_mul_f64_e32 v[182:183], s[12:13], v[86:87]
	v_add_f64_e32 v[60:61], v[118:119], v[60:61]
	;; [unrolled: 2-line block ×4, first 2 shown]
	v_add_f64_e32 v[24:25], v[28:29], v[24:25]
	v_add_f64_e32 v[186:187], v[202:203], v[186:187]
	v_mul_f64_e32 v[202:203], s[10:11], v[62:63]
	v_add_f64_e32 v[188:189], v[204:205], v[188:189]
	v_mul_f64_e32 v[204:205], s[6:7], v[86:87]
	v_mul_f64_e32 v[62:63], s[22:23], v[62:63]
	;; [unrolled: 1-line block ×3, first 2 shown]
	v_add_f64_e32 v[190:191], v[206:207], v[190:191]
	v_add_f64_e32 v[192:193], v[208:209], v[192:193]
	;; [unrolled: 1-line block ×18, first 2 shown]
	v_fma_f64 v[218:219], v[84:85], s[30:31], v[174:175]
	v_fma_f64 v[174:175], v[84:85], s[30:31], -v[174:175]
	v_fma_f64 v[220:221], v[84:85], s[18:19], v[178:179]
	v_fma_f64 v[178:179], v[84:85], s[18:19], -v[178:179]
	v_fma_f64 v[134:135], v[89:90], s[34:35], v[176:177]
	v_fma_f64 v[48:49], v[84:85], s[12:13], v[80:81]
	v_fma_f64 v[80:81], v[84:85], s[12:13], -v[80:81]
	v_add_f64_e32 v[52:53], v[56:57], v[52:53]
	v_add_f64_e32 v[56:57], v[138:139], v[60:61]
	v_fma_f64 v[176:177], v[89:90], s[28:29], v[176:177]
	v_add_f64_e32 v[32:33], v[32:33], v[100:101]
	v_fma_f64 v[222:223], v[89:90], s[16:17], v[180:181]
	v_add_f64_e32 v[20:21], v[26:27], v[20:21]
	v_add_f64_e32 v[22:23], v[24:25], v[22:23]
	;; [unrolled: 1-line block ×3, first 2 shown]
	v_fma_f64 v[26:27], v[84:85], s[38:39], v[118:119]
	v_fma_f64 v[118:119], v[84:85], s[38:39], -v[118:119]
	v_fma_f64 v[124:125], v[84:85], s[6:7], v[202:203]
	v_fma_f64 v[132:133], v[84:85], s[6:7], -v[202:203]
	v_fma_f64 v[184:185], v[84:85], s[24:25], v[62:63]
	v_fma_f64 v[202:203], v[89:90], s[26:27], v[86:87]
	v_fma_f64 v[62:63], v[84:85], s[24:25], -v[62:63]
	v_fma_f64 v[84:85], v[89:90], s[22:23], v[86:87]
	v_add_f64_e32 v[60:61], v[140:141], v[186:187]
	v_add_f64_e32 v[86:87], v[224:225], v[188:189]
	;; [unrolled: 1-line block ×4, first 2 shown]
	v_fma_f64 v[180:181], v[89:90], s[20:21], v[180:181]
	v_fma_f64 v[50:51], v[89:90], s[14:15], v[182:183]
	;; [unrolled: 1-line block ×7, first 2 shown]
	v_add_f64_e32 v[89:90], v[142:143], v[102:103]
	v_add_f64_e32 v[102:103], v[146:147], v[106:107]
	;; [unrolled: 1-line block ×19, first 2 shown]
	v_mul_f64_e32 v[30:31], s[10:11], v[98:99]
	v_mul_f64_e32 v[28:29], s[6:7], v[94:95]
	v_add_f64_e32 v[52:53], v[72:73], v[52:53]
	v_add_f64_e32 v[56:57], v[156:157], v[56:57]
	v_add_f64_e32 v[32:33], v[64:65], v[32:33]
	v_mul_f64_e32 v[122:123], s[36:37], v[98:99]
	v_mul_f64_e32 v[208:209], s[28:29], v[98:99]
	;; [unrolled: 1-line block ×3, first 2 shown]
	v_add_f64_e32 v[60:61], v[240:241], v[60:61]
	v_add_f64_e32 v[64:65], v[242:243], v[86:87]
	;; [unrolled: 1-line block ×4, first 2 shown]
	v_mul_f64_e32 v[210:211], s[14:15], v[98:99]
	v_mul_f64_e32 v[212:213], s[12:13], v[94:95]
	;; [unrolled: 1-line block ×7, first 2 shown]
	v_add_f64_e32 v[72:73], v[158:159], v[89:90]
	v_add_f64_e32 v[89:90], v[162:163], v[102:103]
	;; [unrolled: 1-line block ×19, first 2 shown]
	v_fma_f64 v[108:109], v[92:93], s[6:7], v[30:31]
	v_fma_f64 v[116:117], v[96:97], s[2:3], v[28:29]
	v_add_f64_e32 v[20:21], v[218:219], v[52:53]
	v_add_f64_e32 v[52:53], v[174:175], v[56:57]
	v_fma_f64 v[30:31], v[92:93], s[6:7], -v[30:31]
	v_fma_f64 v[22:23], v[92:93], s[38:39], v[122:123]
	v_fma_f64 v[24:25], v[92:93], s[38:39], -v[122:123]
	v_fma_f64 v[122:123], v[96:97], s[10:11], v[28:29]
	v_add_f64_e32 v[56:57], v[220:221], v[60:61]
	v_add_f64_e32 v[60:61], v[222:223], v[64:65]
	v_fma_f64 v[28:29], v[92:93], s[30:31], v[208:209]
	v_fma_f64 v[144:145], v[96:97], s[34:35], v[126:127]
	v_add_f64_e32 v[48:49], v[48:49], v[86:87]
	v_add_f64_e32 v[34:35], v[50:51], v[34:35]
	v_fma_f64 v[18:19], v[92:93], s[12:13], v[210:211]
	v_fma_f64 v[74:75], v[96:97], s[0:1], v[212:213]
	;; [unrolled: 1-line block ×4, first 2 shown]
	v_fma_f64 v[112:113], v[92:93], s[24:25], -v[130:131]
	v_add_f64_e32 v[64:65], v[178:179], v[72:73]
	v_fma_f64 v[130:131], v[92:93], s[18:19], v[98:99]
	v_add_f64_e32 v[26:27], v[26:27], v[100:101]
	v_add_f64_e32 v[36:37], v[54:55], v[36:37]
	;; [unrolled: 1-line block ×4, first 2 shown]
	v_fma_f64 v[138:139], v[96:97], s[16:17], v[94:95]
	v_add_f64_e32 v[46:47], v[132:133], v[46:47]
	v_add_f64_e32 v[72:73], v[184:185], v[106:107]
	;; [unrolled: 1-line block ×3, first 2 shown]
	v_fma_f64 v[146:147], v[92:93], s[30:31], -v[208:209]
	v_fma_f64 v[76:77], v[92:93], s[12:13], -v[210:211]
	;; [unrolled: 1-line block ×3, first 2 shown]
	v_fma_f64 v[94:95], v[96:97], s[20:21], v[94:95]
	v_add_f64_e32 v[50:51], v[80:81], v[89:90]
	v_add_f64_e32 v[62:63], v[62:63], v[0:1]
	;; [unrolled: 1-line block ×3, first 2 shown]
	v_fma_f64 v[114:115], v[96:97], s[22:23], v[216:217]
	v_add_f64_e32 v[68:69], v[136:137], v[68:69]
	v_fma_f64 v[104:105], v[96:97], s[36:37], v[206:207]
	v_fma_f64 v[78:79], v[96:97], s[14:15], v[212:213]
	v_add_f64_e32 v[32:33], v[176:177], v[32:33]
	v_add_f64_e32 v[54:55], v[118:119], v[102:103]
	;; [unrolled: 1-line block ×3, first 2 shown]
	v_fma_f64 v[126:127], v[96:97], s[28:29], v[126:127]
	v_add_f64_e32 v[58:59], v[182:183], v[58:59]
	v_add_f64_e32 v[70:71], v[180:181], v[70:71]
	;; [unrolled: 1-line block ×4, first 2 shown]
	v_fma_f64 v[66:67], v[96:97], s[40:41], v[206:207]
	v_add_f64_e32 v[89:90], v[134:135], v[16:17]
	v_add_f64_e32 v[12:13], v[108:109], v[56:57]
	;; [unrolled: 1-line block ×7, first 2 shown]
	s_mov_b32 s1, exec_lo
	v_add_f64_e32 v[16:17], v[30:31], v[64:65]
	v_add_f64_e32 v[28:29], v[18:19], v[26:27]
	;; [unrolled: 1-line block ×20, first 2 shown]
	ds_store_b128 v214, v[12:15] offset:3264
	ds_store_b128 v214, v[20:23] offset:4896
	;; [unrolled: 1-line block ×11, first 2 shown]
	ds_store_b128 v214, v[52:55]
	ds_store_b128 v214, v[0:3] offset:1632
	global_wb scope:SCOPE_SE
	s_wait_dscnt 0x0
	s_barrier_signal -1
	s_barrier_wait -1
	global_inv scope:SCOPE_SE
	scratch_load_b32 v0, off, off offset:8 th:TH_LOAD_LU ; 4-byte Folded Reload
	ds_load_b128 v[4:7], v91
                                        ; implicit-def: $vgpr2_vgpr3
                                        ; implicit-def: $vgpr8_vgpr9
                                        ; implicit-def: $vgpr10_vgpr11
	s_wait_loadcnt 0x0
	v_sub_nc_u32_e32 v12, v215, v0
	v_cmpx_ne_u32_e32 0, v88
	s_wait_alu 0xfffe
	s_xor_b32 s1, exec_lo, s1
	s_cbranch_execz .LBB0_19
; %bb.18:
	v_mov_b32_e32 v89, 0
                                        ; implicit-def: $vgpr215
	s_delay_alu instid0(VALU_DEP_1) | instskip(NEXT) | instid1(VALU_DEP_1)
	v_lshlrev_b64_e32 v[0:1], 4, v[88:89]
	v_add_co_u32 v0, s0, s4, v0
	s_wait_alu 0xf1ff
	s_delay_alu instid0(VALU_DEP_2)
	v_add_co_ci_u32_e64 v1, s0, s5, v1, s0
	global_load_b128 v[13:16], v[0:1], off offset:20944
	ds_load_b128 v[0:3], v12 offset:21216
	s_wait_dscnt 0x0
	v_add_f64_e64 v[8:9], v[4:5], -v[0:1]
	v_add_f64_e32 v[10:11], v[6:7], v[2:3]
	v_add_f64_e64 v[2:3], v[6:7], -v[2:3]
	v_add_f64_e32 v[0:1], v[4:5], v[0:1]
	s_delay_alu instid0(VALU_DEP_4) | instskip(NEXT) | instid1(VALU_DEP_4)
	v_mul_f64_e32 v[6:7], 0.5, v[8:9]
	v_mul_f64_e32 v[4:5], 0.5, v[10:11]
	s_delay_alu instid0(VALU_DEP_4) | instskip(SKIP_1) | instid1(VALU_DEP_3)
	v_mul_f64_e32 v[2:3], 0.5, v[2:3]
	s_wait_loadcnt 0x0
	v_mul_f64_e32 v[8:9], v[6:7], v[15:16]
	s_delay_alu instid0(VALU_DEP_2) | instskip(SKIP_1) | instid1(VALU_DEP_3)
	v_fma_f64 v[10:11], v[4:5], v[15:16], v[2:3]
	v_fma_f64 v[2:3], v[4:5], v[15:16], -v[2:3]
	v_fma_f64 v[17:18], v[0:1], 0.5, v[8:9]
	v_fma_f64 v[0:1], v[0:1], 0.5, -v[8:9]
	s_delay_alu instid0(VALU_DEP_4) | instskip(NEXT) | instid1(VALU_DEP_4)
	v_fma_f64 v[8:9], -v[13:14], v[6:7], v[10:11]
	v_fma_f64 v[2:3], -v[13:14], v[6:7], v[2:3]
	v_dual_mov_b32 v10, v88 :: v_dual_mov_b32 v11, v89
	v_fma_f64 v[15:16], v[4:5], v[13:14], v[17:18]
	v_fma_f64 v[0:1], -v[4:5], v[13:14], v[0:1]
                                        ; implicit-def: $vgpr4_vgpr5
	ds_store_b64 v91, v[15:16]
.LBB0_19:
	s_wait_alu 0xfffe
	s_and_not1_saveexec_b32 s0, s1
	s_cbranch_execz .LBB0_21
; %bb.20:
	s_wait_dscnt 0x0
	v_add_f64_e32 v[13:14], v[4:5], v[6:7]
	v_add_f64_e64 v[0:1], v[4:5], -v[6:7]
	ds_load_b64 v[4:5], v215 offset:10616
	v_mov_b32_e32 v8, 0
	v_dual_mov_b32 v9, 0 :: v_dual_mov_b32 v10, 0
	s_delay_alu instid0(VALU_DEP_2) | instskip(NEXT) | instid1(VALU_DEP_2)
	v_dual_mov_b32 v11, 0 :: v_dual_mov_b32 v2, v8
	v_mov_b32_e32 v3, v9
	s_wait_dscnt 0x0
	v_xor_b32_e32 v5, 0x80000000, v5
	ds_store_b64 v91, v[13:14]
	ds_store_b64 v215, v[4:5] offset:10616
.LBB0_21:
	s_wait_alu 0xfffe
	s_or_b32 exec_lo, exec_lo, s0
	s_wait_dscnt 0x0
	v_lshlrev_b64_e32 v[4:5], 4, v[10:11]
	s_add_nc_u64 s[0:1], s[4:5], 0x51d0
	s_wait_alu 0xfffe
	s_delay_alu instid0(VALU_DEP_1) | instskip(SKIP_1) | instid1(VALU_DEP_2)
	v_add_co_u32 v6, s0, s0, v4
	s_wait_alu 0xf1ff
	v_add_co_ci_u32_e64 v7, s0, s1, v5, s0
	s_mov_b32 s1, exec_lo
	s_clause 0x1
	global_load_b128 v[13:16], v[6:7], off offset:1632
	global_load_b128 v[17:20], v[6:7], off offset:3264
	ds_store_b64 v91, v[8:9] offset:8
	ds_store_b128 v12, v[0:3] offset:21216
	ds_load_b128 v[0:3], v91 offset:1632
	ds_load_b128 v[8:11], v12 offset:19584
	s_wait_dscnt 0x0
	v_add_f64_e64 v[21:22], v[0:1], -v[8:9]
	v_add_f64_e32 v[23:24], v[2:3], v[10:11]
	v_add_f64_e64 v[2:3], v[2:3], -v[10:11]
	v_add_f64_e32 v[0:1], v[0:1], v[8:9]
	s_delay_alu instid0(VALU_DEP_4) | instskip(NEXT) | instid1(VALU_DEP_4)
	v_mul_f64_e32 v[10:11], 0.5, v[21:22]
	v_mul_f64_e32 v[21:22], 0.5, v[23:24]
	s_delay_alu instid0(VALU_DEP_4) | instskip(SKIP_1) | instid1(VALU_DEP_3)
	v_mul_f64_e32 v[2:3], 0.5, v[2:3]
	s_wait_loadcnt 0x1
	v_mul_f64_e32 v[8:9], v[10:11], v[15:16]
	s_delay_alu instid0(VALU_DEP_2) | instskip(SKIP_1) | instid1(VALU_DEP_3)
	v_fma_f64 v[23:24], v[21:22], v[15:16], v[2:3]
	v_fma_f64 v[15:16], v[21:22], v[15:16], -v[2:3]
	v_fma_f64 v[25:26], v[0:1], 0.5, v[8:9]
	v_fma_f64 v[8:9], v[0:1], 0.5, -v[8:9]
	s_delay_alu instid0(VALU_DEP_4) | instskip(NEXT) | instid1(VALU_DEP_4)
	v_fma_f64 v[2:3], -v[13:14], v[10:11], v[23:24]
	v_fma_f64 v[10:11], -v[13:14], v[10:11], v[15:16]
	s_delay_alu instid0(VALU_DEP_4) | instskip(NEXT) | instid1(VALU_DEP_4)
	v_fma_f64 v[0:1], v[21:22], v[13:14], v[25:26]
	v_fma_f64 v[8:9], -v[21:22], v[13:14], v[8:9]
	global_load_b128 v[13:16], v[6:7], off offset:4896
	ds_store_b128 v91, v[0:3] offset:1632
	ds_store_b128 v12, v[8:11] offset:19584
	ds_load_b128 v[0:3], v91 offset:3264
	ds_load_b128 v[8:11], v12 offset:17952
	s_wait_dscnt 0x0
	v_add_f64_e64 v[21:22], v[0:1], -v[8:9]
	v_add_f64_e32 v[23:24], v[2:3], v[10:11]
	v_add_f64_e64 v[2:3], v[2:3], -v[10:11]
	v_add_f64_e32 v[0:1], v[0:1], v[8:9]
	s_delay_alu instid0(VALU_DEP_4) | instskip(NEXT) | instid1(VALU_DEP_4)
	v_mul_f64_e32 v[10:11], 0.5, v[21:22]
	v_mul_f64_e32 v[21:22], 0.5, v[23:24]
	s_delay_alu instid0(VALU_DEP_4) | instskip(SKIP_1) | instid1(VALU_DEP_3)
	v_mul_f64_e32 v[2:3], 0.5, v[2:3]
	s_wait_loadcnt 0x1
	v_mul_f64_e32 v[8:9], v[10:11], v[19:20]
	s_delay_alu instid0(VALU_DEP_2) | instskip(SKIP_1) | instid1(VALU_DEP_3)
	v_fma_f64 v[23:24], v[21:22], v[19:20], v[2:3]
	v_fma_f64 v[19:20], v[21:22], v[19:20], -v[2:3]
	v_fma_f64 v[25:26], v[0:1], 0.5, v[8:9]
	v_fma_f64 v[8:9], v[0:1], 0.5, -v[8:9]
	s_delay_alu instid0(VALU_DEP_4) | instskip(NEXT) | instid1(VALU_DEP_4)
	v_fma_f64 v[2:3], -v[17:18], v[10:11], v[23:24]
	v_fma_f64 v[10:11], -v[17:18], v[10:11], v[19:20]
	s_delay_alu instid0(VALU_DEP_4) | instskip(NEXT) | instid1(VALU_DEP_4)
	v_fma_f64 v[0:1], v[21:22], v[17:18], v[25:26]
	v_fma_f64 v[8:9], -v[21:22], v[17:18], v[8:9]
	global_load_b128 v[17:20], v[6:7], off offset:6528
	ds_store_b128 v91, v[0:3] offset:3264
	;; [unrolled: 28-line block ×3, first 2 shown]
	ds_store_b128 v12, v[8:11] offset:16320
	ds_load_b128 v[0:3], v91 offset:6528
	ds_load_b128 v[8:11], v12 offset:14688
	s_wait_dscnt 0x0
	v_add_f64_e64 v[21:22], v[0:1], -v[8:9]
	v_add_f64_e32 v[23:24], v[2:3], v[10:11]
	v_add_f64_e64 v[2:3], v[2:3], -v[10:11]
	v_add_f64_e32 v[0:1], v[0:1], v[8:9]
	s_delay_alu instid0(VALU_DEP_4) | instskip(NEXT) | instid1(VALU_DEP_4)
	v_mul_f64_e32 v[10:11], 0.5, v[21:22]
	v_mul_f64_e32 v[21:22], 0.5, v[23:24]
	s_delay_alu instid0(VALU_DEP_4) | instskip(SKIP_1) | instid1(VALU_DEP_3)
	v_mul_f64_e32 v[2:3], 0.5, v[2:3]
	s_wait_loadcnt 0x1
	v_mul_f64_e32 v[8:9], v[10:11], v[19:20]
	s_delay_alu instid0(VALU_DEP_2) | instskip(SKIP_1) | instid1(VALU_DEP_3)
	v_fma_f64 v[23:24], v[21:22], v[19:20], v[2:3]
	v_fma_f64 v[19:20], v[21:22], v[19:20], -v[2:3]
	v_fma_f64 v[25:26], v[0:1], 0.5, v[8:9]
	v_fma_f64 v[8:9], v[0:1], 0.5, -v[8:9]
	s_delay_alu instid0(VALU_DEP_4) | instskip(NEXT) | instid1(VALU_DEP_4)
	v_fma_f64 v[2:3], -v[17:18], v[10:11], v[23:24]
	v_fma_f64 v[10:11], -v[17:18], v[10:11], v[19:20]
	s_delay_alu instid0(VALU_DEP_4) | instskip(NEXT) | instid1(VALU_DEP_4)
	v_fma_f64 v[0:1], v[21:22], v[17:18], v[25:26]
	v_fma_f64 v[8:9], -v[21:22], v[17:18], v[8:9]
	ds_store_b128 v91, v[0:3] offset:6528
	ds_store_b128 v12, v[8:11] offset:14688
	ds_load_b128 v[0:3], v91 offset:8160
	ds_load_b128 v[8:11], v12 offset:13056
	s_wait_dscnt 0x0
	v_add_f64_e64 v[17:18], v[0:1], -v[8:9]
	v_add_f64_e32 v[19:20], v[2:3], v[10:11]
	v_add_f64_e64 v[2:3], v[2:3], -v[10:11]
	v_add_f64_e32 v[0:1], v[0:1], v[8:9]
	s_delay_alu instid0(VALU_DEP_4) | instskip(NEXT) | instid1(VALU_DEP_4)
	v_mul_f64_e32 v[10:11], 0.5, v[17:18]
	v_mul_f64_e32 v[17:18], 0.5, v[19:20]
	s_delay_alu instid0(VALU_DEP_4) | instskip(SKIP_1) | instid1(VALU_DEP_3)
	v_mul_f64_e32 v[2:3], 0.5, v[2:3]
	s_wait_loadcnt 0x0
	v_mul_f64_e32 v[8:9], v[10:11], v[15:16]
	s_delay_alu instid0(VALU_DEP_2) | instskip(SKIP_1) | instid1(VALU_DEP_3)
	v_fma_f64 v[19:20], v[17:18], v[15:16], v[2:3]
	v_fma_f64 v[15:16], v[17:18], v[15:16], -v[2:3]
	v_fma_f64 v[21:22], v[0:1], 0.5, v[8:9]
	v_fma_f64 v[8:9], v[0:1], 0.5, -v[8:9]
	s_delay_alu instid0(VALU_DEP_4) | instskip(NEXT) | instid1(VALU_DEP_4)
	v_fma_f64 v[2:3], -v[13:14], v[10:11], v[19:20]
	v_fma_f64 v[10:11], -v[13:14], v[10:11], v[15:16]
	s_delay_alu instid0(VALU_DEP_4) | instskip(NEXT) | instid1(VALU_DEP_4)
	v_fma_f64 v[0:1], v[17:18], v[13:14], v[21:22]
	v_fma_f64 v[8:9], -v[17:18], v[13:14], v[8:9]
	ds_store_b128 v91, v[0:3] offset:8160
	ds_store_b128 v12, v[8:11] offset:13056
	v_cmpx_gt_u32_e32 51, v88
	s_cbranch_execz .LBB0_23
; %bb.22:
	global_load_b128 v[0:3], v[6:7], off offset:9792
	ds_load_b128 v[6:9], v91 offset:9792
	ds_load_b128 v[13:16], v12 offset:11424
	s_wait_dscnt 0x0
	v_add_f64_e64 v[10:11], v[6:7], -v[13:14]
	v_add_f64_e32 v[17:18], v[8:9], v[15:16]
	v_add_f64_e64 v[8:9], v[8:9], -v[15:16]
	v_add_f64_e32 v[6:7], v[6:7], v[13:14]
	s_delay_alu instid0(VALU_DEP_4) | instskip(NEXT) | instid1(VALU_DEP_4)
	v_mul_f64_e32 v[10:11], 0.5, v[10:11]
	v_mul_f64_e32 v[15:16], 0.5, v[17:18]
	s_delay_alu instid0(VALU_DEP_4) | instskip(SKIP_1) | instid1(VALU_DEP_3)
	v_mul_f64_e32 v[8:9], 0.5, v[8:9]
	s_wait_loadcnt 0x0
	v_mul_f64_e32 v[13:14], v[10:11], v[2:3]
	s_delay_alu instid0(VALU_DEP_2) | instskip(SKIP_1) | instid1(VALU_DEP_3)
	v_fma_f64 v[17:18], v[15:16], v[2:3], v[8:9]
	v_fma_f64 v[2:3], v[15:16], v[2:3], -v[8:9]
	v_fma_f64 v[19:20], v[6:7], 0.5, v[13:14]
	v_fma_f64 v[13:14], v[6:7], 0.5, -v[13:14]
	s_delay_alu instid0(VALU_DEP_4) | instskip(NEXT) | instid1(VALU_DEP_4)
	v_fma_f64 v[8:9], -v[0:1], v[10:11], v[17:18]
	v_fma_f64 v[2:3], -v[0:1], v[10:11], v[2:3]
	s_delay_alu instid0(VALU_DEP_4) | instskip(NEXT) | instid1(VALU_DEP_4)
	v_fma_f64 v[6:7], v[15:16], v[0:1], v[19:20]
	v_fma_f64 v[0:1], -v[15:16], v[0:1], v[13:14]
	ds_store_b128 v91, v[6:9] offset:9792
	ds_store_b128 v12, v[0:3] offset:11424
.LBB0_23:
	s_wait_alu 0xfffe
	s_or_b32 exec_lo, exec_lo, s1
	global_wb scope:SCOPE_SE
	s_wait_dscnt 0x0
	s_barrier_signal -1
	s_barrier_wait -1
	global_inv scope:SCOPE_SE
	s_and_saveexec_b32 s0, vcc_lo
	s_cbranch_execz .LBB0_26
; %bb.24:
	scratch_load_b64 v[0:1], off, off th:TH_LOAD_LU ; 8-byte Folded Reload
	ds_load_b128 v[6:9], v91
	ds_load_b128 v[10:13], v91 offset:1632
	ds_load_b128 v[14:17], v91 offset:3264
	;; [unrolled: 1-line block ×12, first 2 shown]
	s_wait_loadcnt 0x0
	v_add_co_u32 v0, vcc_lo, s8, v0
	s_wait_alu 0xfffd
	v_add_co_ci_u32_e32 v1, vcc_lo, s9, v1, vcc_lo
	s_delay_alu instid0(VALU_DEP_2) | instskip(SKIP_1) | instid1(VALU_DEP_2)
	v_add_co_u32 v2, vcc_lo, v0, v4
	s_wait_alu 0xfffd
	v_add_co_ci_u32_e32 v3, vcc_lo, v1, v5, vcc_lo
	v_cmp_eq_u32_e32 vcc_lo, 0x65, v88
	s_wait_dscnt 0xc
	global_store_b128 v[2:3], v[6:9], off
	s_wait_dscnt 0xb
	global_store_b128 v[2:3], v[10:13], off offset:1632
	s_wait_dscnt 0xa
	global_store_b128 v[2:3], v[14:17], off offset:3264
	;; [unrolled: 2-line block ×12, first 2 shown]
	s_and_b32 exec_lo, exec_lo, vcc_lo
	s_cbranch_execz .LBB0_26
; %bb.25:
	ds_load_b128 v[2:5], v91 offset:19600
	s_wait_dscnt 0x0
	global_store_b128 v[0:1], v[2:5], off offset:21216
.LBB0_26:
	s_nop 0
	s_sendmsg sendmsg(MSG_DEALLOC_VGPRS)
	s_endpgm
	.section	.rodata,"a",@progbits
	.p2align	6, 0x0
	.amdhsa_kernel fft_rtc_back_len1326_factors_17_6_13_wgs_204_tpt_102_halfLds_dp_ip_CI_unitstride_sbrr_R2C_dirReg
		.amdhsa_group_segment_fixed_size 0
		.amdhsa_private_segment_fixed_size 272
		.amdhsa_kernarg_size 88
		.amdhsa_user_sgpr_count 2
		.amdhsa_user_sgpr_dispatch_ptr 0
		.amdhsa_user_sgpr_queue_ptr 0
		.amdhsa_user_sgpr_kernarg_segment_ptr 1
		.amdhsa_user_sgpr_dispatch_id 0
		.amdhsa_user_sgpr_private_segment_size 0
		.amdhsa_wavefront_size32 1
		.amdhsa_uses_dynamic_stack 0
		.amdhsa_enable_private_segment 1
		.amdhsa_system_sgpr_workgroup_id_x 1
		.amdhsa_system_sgpr_workgroup_id_y 0
		.amdhsa_system_sgpr_workgroup_id_z 0
		.amdhsa_system_sgpr_workgroup_info 0
		.amdhsa_system_vgpr_workitem_id 0
		.amdhsa_next_free_vgpr 256
		.amdhsa_next_free_sgpr 56
		.amdhsa_reserve_vcc 1
		.amdhsa_float_round_mode_32 0
		.amdhsa_float_round_mode_16_64 0
		.amdhsa_float_denorm_mode_32 3
		.amdhsa_float_denorm_mode_16_64 3
		.amdhsa_fp16_overflow 0
		.amdhsa_workgroup_processor_mode 1
		.amdhsa_memory_ordered 1
		.amdhsa_forward_progress 0
		.amdhsa_round_robin_scheduling 0
		.amdhsa_exception_fp_ieee_invalid_op 0
		.amdhsa_exception_fp_denorm_src 0
		.amdhsa_exception_fp_ieee_div_zero 0
		.amdhsa_exception_fp_ieee_overflow 0
		.amdhsa_exception_fp_ieee_underflow 0
		.amdhsa_exception_fp_ieee_inexact 0
		.amdhsa_exception_int_div_zero 0
	.end_amdhsa_kernel
	.text
.Lfunc_end0:
	.size	fft_rtc_back_len1326_factors_17_6_13_wgs_204_tpt_102_halfLds_dp_ip_CI_unitstride_sbrr_R2C_dirReg, .Lfunc_end0-fft_rtc_back_len1326_factors_17_6_13_wgs_204_tpt_102_halfLds_dp_ip_CI_unitstride_sbrr_R2C_dirReg
                                        ; -- End function
	.section	.AMDGPU.csdata,"",@progbits
; Kernel info:
; codeLenInByte = 15424
; NumSgprs: 58
; NumVgprs: 256
; ScratchSize: 272
; MemoryBound: 0
; FloatMode: 240
; IeeeMode: 1
; LDSByteSize: 0 bytes/workgroup (compile time only)
; SGPRBlocks: 7
; VGPRBlocks: 31
; NumSGPRsForWavesPerEU: 58
; NumVGPRsForWavesPerEU: 256
; Occupancy: 5
; WaveLimiterHint : 1
; COMPUTE_PGM_RSRC2:SCRATCH_EN: 1
; COMPUTE_PGM_RSRC2:USER_SGPR: 2
; COMPUTE_PGM_RSRC2:TRAP_HANDLER: 0
; COMPUTE_PGM_RSRC2:TGID_X_EN: 1
; COMPUTE_PGM_RSRC2:TGID_Y_EN: 0
; COMPUTE_PGM_RSRC2:TGID_Z_EN: 0
; COMPUTE_PGM_RSRC2:TIDIG_COMP_CNT: 0
	.text
	.p2alignl 7, 3214868480
	.fill 96, 4, 3214868480
	.type	__hip_cuid_44307bfe3cf22a95,@object ; @__hip_cuid_44307bfe3cf22a95
	.section	.bss,"aw",@nobits
	.globl	__hip_cuid_44307bfe3cf22a95
__hip_cuid_44307bfe3cf22a95:
	.byte	0                               ; 0x0
	.size	__hip_cuid_44307bfe3cf22a95, 1

	.ident	"AMD clang version 19.0.0git (https://github.com/RadeonOpenCompute/llvm-project roc-6.4.0 25133 c7fe45cf4b819c5991fe208aaa96edf142730f1d)"
	.section	".note.GNU-stack","",@progbits
	.addrsig
	.addrsig_sym __hip_cuid_44307bfe3cf22a95
	.amdgpu_metadata
---
amdhsa.kernels:
  - .args:
      - .actual_access:  read_only
        .address_space:  global
        .offset:         0
        .size:           8
        .value_kind:     global_buffer
      - .offset:         8
        .size:           8
        .value_kind:     by_value
      - .actual_access:  read_only
        .address_space:  global
        .offset:         16
        .size:           8
        .value_kind:     global_buffer
      - .actual_access:  read_only
        .address_space:  global
        .offset:         24
        .size:           8
        .value_kind:     global_buffer
      - .offset:         32
        .size:           8
        .value_kind:     by_value
      - .actual_access:  read_only
        .address_space:  global
        .offset:         40
        .size:           8
        .value_kind:     global_buffer
      - .actual_access:  read_only
        .address_space:  global
        .offset:         48
        .size:           8
        .value_kind:     global_buffer
      - .offset:         56
        .size:           4
        .value_kind:     by_value
      - .actual_access:  read_only
        .address_space:  global
        .offset:         64
        .size:           8
        .value_kind:     global_buffer
      - .actual_access:  read_only
        .address_space:  global
        .offset:         72
        .size:           8
        .value_kind:     global_buffer
      - .address_space:  global
        .offset:         80
        .size:           8
        .value_kind:     global_buffer
    .group_segment_fixed_size: 0
    .kernarg_segment_align: 8
    .kernarg_segment_size: 88
    .language:       OpenCL C
    .language_version:
      - 2
      - 0
    .max_flat_workgroup_size: 204
    .name:           fft_rtc_back_len1326_factors_17_6_13_wgs_204_tpt_102_halfLds_dp_ip_CI_unitstride_sbrr_R2C_dirReg
    .private_segment_fixed_size: 272
    .sgpr_count:     58
    .sgpr_spill_count: 0
    .symbol:         fft_rtc_back_len1326_factors_17_6_13_wgs_204_tpt_102_halfLds_dp_ip_CI_unitstride_sbrr_R2C_dirReg.kd
    .uniform_work_group_size: 1
    .uses_dynamic_stack: false
    .vgpr_count:     256
    .vgpr_spill_count: 67
    .wavefront_size: 32
    .workgroup_processor_mode: 1
amdhsa.target:   amdgcn-amd-amdhsa--gfx1201
amdhsa.version:
  - 1
  - 2
...

	.end_amdgpu_metadata
